;; amdgpu-corpus repo=zjin-lcf/HeCBench kind=compiled arch=gfx906 opt=O3
	.amdgcn_target "amdgcn-amd-amdhsa--gfx906"
	.amdhsa_code_object_version 6
	.section	.text._Z6kalmanILi8EEvPKdiS1_S1_S1_S1_S1_bS1_iPdS2_S2_iiS2_bS2_,"axG",@progbits,_Z6kalmanILi8EEvPKdiS1_S1_S1_S1_S1_bS1_iPdS2_S2_iiS2_bS2_,comdat
	.protected	_Z6kalmanILi8EEvPKdiS1_S1_S1_S1_S1_bS1_iPdS2_S2_iiS2_bS2_ ; -- Begin function _Z6kalmanILi8EEvPKdiS1_S1_S1_S1_S1_bS1_iPdS2_S2_iiS2_bS2_
	.globl	_Z6kalmanILi8EEvPKdiS1_S1_S1_S1_S1_bS1_iPdS2_S2_iiS2_bS2_
	.p2align	8
	.type	_Z6kalmanILi8EEvPKdiS1_S1_S1_S1_S1_bS1_iPdS2_S2_iiS2_bS2_,@function
_Z6kalmanILi8EEvPKdiS1_S1_S1_S1_S1_bS1_iPdS2_S2_iiS2_bS2_: ; @_Z6kalmanILi8EEvPKdiS1_S1_S1_S1_S1_bS1_iPdS2_S2_iiS2_bS2_
; %bb.0:
	s_mov_b64 s[42:43], s[2:3]
	s_mov_b64 s[40:41], s[0:1]
	s_load_dword s0, s[4:5], 0x94
	s_load_dword s1, s[4:5], 0x48
	s_add_u32 s40, s40, s7
	s_addc_u32 s41, s41, 0
	s_waitcnt lgkmcnt(0)
	s_and_b32 s0, s0, 0xffff
	s_mul_i32 s6, s6, s0
	v_add_u32_e32 v10, s6, v0
	v_cmp_gt_i32_e32 vcc, s1, v10
	s_and_saveexec_b64 s[0:1], vcc
	s_cbranch_execz .LBB0_53
; %bb.1:
	v_lshlrev_b32_e32 v0, 6, v10
	s_load_dwordx8 s[8:15], s[4:5], 0x10
	s_load_dwordx2 s[0:1], s[4:5], 0x30
	s_load_dwordx2 s[2:3], s[4:5], 0x68
	v_ashrrev_i32_e32 v1, 31, v0
	v_lshlrev_b64 v[0:1], 3, v[0:1]
	s_waitcnt lgkmcnt(0)
	v_mov_b32_e32 v2, s13
	v_add_co_u32_e32 v4, vcc, s12, v0
	v_addc_co_u32_e32 v5, vcc, v2, v1, vcc
	global_load_dwordx4 v[6:9], v[4:5], off offset:48
	v_mov_b32_e32 v3, s9
	v_add_co_u32_e32 v2, vcc, s8, v0
	v_addc_co_u32_e32 v3, vcc, v3, v1, vcc
	v_add_co_u32_e32 v0, vcc, s14, v0
	v_mov_b32_e32 v48, v10
	s_cmp_gt_i32 s2, 0
	s_cselect_b64 s[6:7], -1, 0
	s_cmp_lt_i32 s2, 1
	s_waitcnt vmcnt(0)
	buffer_store_dword v6, off, s[40:43], 0 offset:2040 ; 4-byte Folded Spill
	s_nop 0
	buffer_store_dword v7, off, s[40:43], 0 offset:2044 ; 4-byte Folded Spill
	buffer_store_dword v8, off, s[40:43], 0 offset:2048 ; 4-byte Folded Spill
	;; [unrolled: 1-line block ×3, first 2 shown]
	global_load_dwordx4 v[6:9], v[4:5], off offset:32
	s_waitcnt vmcnt(0)
	buffer_store_dword v6, off, s[40:43], 0 offset:2056 ; 4-byte Folded Spill
	s_nop 0
	buffer_store_dword v7, off, s[40:43], 0 offset:2060 ; 4-byte Folded Spill
	buffer_store_dword v8, off, s[40:43], 0 offset:2064 ; 4-byte Folded Spill
	;; [unrolled: 1-line block ×3, first 2 shown]
	v_mov_b32_e32 v6, s15
	v_addc_co_u32_e32 v1, vcc, v6, v1, vcc
	v_lshlrev_b32_e32 v6, 3, v10
	v_ashrrev_i32_e32 v7, 31, v6
	v_lshlrev_b64 v[14:15], 3, v[6:7]
	global_load_dwordx4 v[6:9], v[4:5], off offset:16
	s_waitcnt vmcnt(0)
	buffer_store_dword v6, off, s[40:43], 0 offset:2072 ; 4-byte Folded Spill
	s_nop 0
	buffer_store_dword v7, off, s[40:43], 0 offset:2076 ; 4-byte Folded Spill
	buffer_store_dword v8, off, s[40:43], 0 offset:2080 ; 4-byte Folded Spill
	;; [unrolled: 1-line block ×3, first 2 shown]
	global_load_dwordx4 v[6:9], v[4:5], off
	s_waitcnt vmcnt(0)
	buffer_store_dword v6, off, s[40:43], 0 offset:2088 ; 4-byte Folded Spill
	s_nop 0
	buffer_store_dword v7, off, s[40:43], 0 offset:2092 ; 4-byte Folded Spill
	buffer_store_dword v8, off, s[40:43], 0 offset:2096 ; 4-byte Folded Spill
	buffer_store_dword v9, off, s[40:43], 0 offset:2100 ; 4-byte Folded Spill
	global_load_dwordx4 v[6:9], v[4:5], off offset:112
	s_waitcnt vmcnt(0)
	buffer_store_dword v6, off, s[40:43], 0 offset:2104 ; 4-byte Folded Spill
	s_nop 0
	buffer_store_dword v7, off, s[40:43], 0 offset:2108 ; 4-byte Folded Spill
	buffer_store_dword v8, off, s[40:43], 0 offset:2112 ; 4-byte Folded Spill
	buffer_store_dword v9, off, s[40:43], 0 offset:2116 ; 4-byte Folded Spill
	global_load_dwordx4 v[6:9], v[4:5], off offset:96
	;; [unrolled: 7-line block ×31, first 2 shown]
	s_waitcnt vmcnt(0)
	buffer_store_dword v4, off, s[40:43], 0 offset:416 ; 4-byte Folded Spill
	s_nop 0
	buffer_store_dword v5, off, s[40:43], 0 offset:420 ; 4-byte Folded Spill
	buffer_store_dword v6, off, s[40:43], 0 offset:424 ; 4-byte Folded Spill
	;; [unrolled: 1-line block ×3, first 2 shown]
	global_load_dwordx4 v[4:7], v[2:3], off
	s_waitcnt vmcnt(0)
	buffer_store_dword v4, off, s[40:43], 0 offset:400 ; 4-byte Folded Spill
	s_nop 0
	buffer_store_dword v5, off, s[40:43], 0 offset:404 ; 4-byte Folded Spill
	buffer_store_dword v6, off, s[40:43], 0 offset:408 ; 4-byte Folded Spill
	;; [unrolled: 1-line block ×3, first 2 shown]
	global_load_dwordx4 v[10:13], v[2:3], off offset:112
	s_nop 0
	global_load_dwordx4 v[4:7], v[2:3], off offset:96
	s_waitcnt vmcnt(0)
	buffer_store_dword v4, off, s[40:43], 0 offset:240 ; 4-byte Folded Spill
	s_nop 0
	buffer_store_dword v5, off, s[40:43], 0 offset:244 ; 4-byte Folded Spill
	buffer_store_dword v6, off, s[40:43], 0 offset:248 ; 4-byte Folded Spill
	buffer_store_dword v7, off, s[40:43], 0 offset:252 ; 4-byte Folded Spill
	global_load_dwordx4 v[4:7], v[2:3], off offset:80
	s_waitcnt vmcnt(0)
	buffer_store_dword v4, off, s[40:43], 0 offset:176 ; 4-byte Folded Spill
	s_nop 0
	buffer_store_dword v5, off, s[40:43], 0 offset:180 ; 4-byte Folded Spill
	buffer_store_dword v6, off, s[40:43], 0 offset:184 ; 4-byte Folded Spill
	buffer_store_dword v7, off, s[40:43], 0 offset:188 ; 4-byte Folded Spill
	;; [unrolled: 7-line block ×7, first 2 shown]
	global_load_dwordx4 v[16:19], v[2:3], off offset:240
	s_nop 0
	global_load_dwordx4 v[4:7], v[2:3], off offset:224
	s_waitcnt vmcnt(0)
	buffer_store_dword v4, off, s[40:43], 0 offset:64 ; 4-byte Folded Spill
	s_nop 0
	buffer_store_dword v5, off, s[40:43], 0 offset:68 ; 4-byte Folded Spill
	buffer_store_dword v6, off, s[40:43], 0 offset:72 ; 4-byte Folded Spill
	buffer_store_dword v7, off, s[40:43], 0 offset:76 ; 4-byte Folded Spill
	global_load_dwordx4 v[4:7], v[2:3], off offset:208
	s_waitcnt vmcnt(0)
	buffer_store_dword v4, off, s[40:43], 0 offset:128 ; 4-byte Folded Spill
	s_nop 0
	buffer_store_dword v5, off, s[40:43], 0 offset:132 ; 4-byte Folded Spill
	buffer_store_dword v6, off, s[40:43], 0 offset:136 ; 4-byte Folded Spill
	buffer_store_dword v7, off, s[40:43], 0 offset:140 ; 4-byte Folded Spill
	;; [unrolled: 7-line block ×4, first 2 shown]
	global_load_dwordx4 v[4:7], v[2:3], off offset:288
	s_waitcnt vmcnt(0)
	buffer_store_dword v4, off, s[40:43], 0 ; 4-byte Folded Spill
	s_nop 0
	buffer_store_dword v5, off, s[40:43], 0 offset:4 ; 4-byte Folded Spill
	buffer_store_dword v6, off, s[40:43], 0 offset:8 ; 4-byte Folded Spill
	buffer_store_dword v7, off, s[40:43], 0 offset:12 ; 4-byte Folded Spill
	global_load_dwordx4 v[4:7], v[2:3], off offset:272
	s_waitcnt vmcnt(0)
	buffer_store_dword v4, off, s[40:43], 0 offset:144 ; 4-byte Folded Spill
	s_nop 0
	buffer_store_dword v5, off, s[40:43], 0 offset:148 ; 4-byte Folded Spill
	buffer_store_dword v6, off, s[40:43], 0 offset:152 ; 4-byte Folded Spill
	buffer_store_dword v7, off, s[40:43], 0 offset:156 ; 4-byte Folded Spill
	global_load_dwordx4 v[4:7], v[2:3], off offset:256
	s_waitcnt vmcnt(0)
	buffer_store_dword v4, off, s[40:43], 0 offset:336 ; 4-byte Folded Spill
	;; [unrolled: 7-line block ×5, first 2 shown]
	s_nop 0
	buffer_store_dword v5, off, s[40:43], 0 offset:228 ; 4-byte Folded Spill
	buffer_store_dword v6, off, s[40:43], 0 offset:232 ; 4-byte Folded Spill
	;; [unrolled: 1-line block ×3, first 2 shown]
	global_load_dwordx4 v[40:43], v[2:3], off offset:320
	s_nop 0
	global_load_dwordx4 v[4:7], v[2:3], off offset:432
	s_waitcnt vmcnt(0)
	buffer_store_dword v4, off, s[40:43], 0 offset:160 ; 4-byte Folded Spill
	s_nop 0
	buffer_store_dword v5, off, s[40:43], 0 offset:164 ; 4-byte Folded Spill
	buffer_store_dword v6, off, s[40:43], 0 offset:168 ; 4-byte Folded Spill
	buffer_store_dword v7, off, s[40:43], 0 offset:172 ; 4-byte Folded Spill
	global_load_dwordx4 v[4:7], v[2:3], off offset:416
	s_waitcnt vmcnt(0)
	buffer_store_dword v4, off, s[40:43], 0 offset:16 ; 4-byte Folded Spill
	s_nop 0
	buffer_store_dword v5, off, s[40:43], 0 offset:20 ; 4-byte Folded Spill
	buffer_store_dword v6, off, s[40:43], 0 offset:24 ; 4-byte Folded Spill
	buffer_store_dword v7, off, s[40:43], 0 offset:28 ; 4-byte Folded Spill
	;; [unrolled: 7-line block ×3, first 2 shown]
	global_load_dwordx4 v[44:47], v[2:3], off offset:384
	s_nop 0
	global_load_dwordx4 v[4:7], v[2:3], off offset:496
	s_waitcnt vmcnt(0)
	buffer_store_dword v4, off, s[40:43], 0 offset:256 ; 4-byte Folded Spill
	s_nop 0
	buffer_store_dword v5, off, s[40:43], 0 offset:260 ; 4-byte Folded Spill
	buffer_store_dword v6, off, s[40:43], 0 offset:264 ; 4-byte Folded Spill
	buffer_store_dword v7, off, s[40:43], 0 offset:268 ; 4-byte Folded Spill
	global_load_dwordx4 v[4:7], v[2:3], off offset:480
	s_waitcnt vmcnt(0)
	buffer_store_dword v4, off, s[40:43], 0 offset:304 ; 4-byte Folded Spill
	s_nop 0
	buffer_store_dword v5, off, s[40:43], 0 offset:308 ; 4-byte Folded Spill
	buffer_store_dword v6, off, s[40:43], 0 offset:312 ; 4-byte Folded Spill
	buffer_store_dword v7, off, s[40:43], 0 offset:316 ; 4-byte Folded Spill
	;; [unrolled: 7-line block ×7, first 2 shown]
	global_load_dwordx4 v[2:5], v[0:1], off
	s_waitcnt vmcnt(0)
	buffer_store_dword v2, off, s[40:43], 0 offset:1008 ; 4-byte Folded Spill
	s_nop 0
	buffer_store_dword v3, off, s[40:43], 0 offset:1012 ; 4-byte Folded Spill
	buffer_store_dword v4, off, s[40:43], 0 offset:1016 ; 4-byte Folded Spill
	buffer_store_dword v5, off, s[40:43], 0 offset:1020 ; 4-byte Folded Spill
	global_load_dwordx4 v[2:5], v[0:1], off offset:112
	s_waitcnt vmcnt(0)
	buffer_store_dword v2, off, s[40:43], 0 offset:896 ; 4-byte Folded Spill
	s_nop 0
	buffer_store_dword v3, off, s[40:43], 0 offset:900 ; 4-byte Folded Spill
	buffer_store_dword v4, off, s[40:43], 0 offset:904 ; 4-byte Folded Spill
	buffer_store_dword v5, off, s[40:43], 0 offset:908 ; 4-byte Folded Spill
	global_load_dwordx4 v[2:5], v[0:1], off offset:96
	;; [unrolled: 7-line block ×9, first 2 shown]
	global_load_dwordx4 v[28:31], v[0:1], off offset:224
	s_nop 0
	global_load_dwordx4 v[2:5], v[0:1], off offset:208
	s_waitcnt vmcnt(0)
	buffer_store_dword v2, off, s[40:43], 0 offset:752 ; 4-byte Folded Spill
	s_nop 0
	buffer_store_dword v3, off, s[40:43], 0 offset:756 ; 4-byte Folded Spill
	buffer_store_dword v4, off, s[40:43], 0 offset:760 ; 4-byte Folded Spill
	buffer_store_dword v5, off, s[40:43], 0 offset:764 ; 4-byte Folded Spill
	global_load_dwordx4 v[2:5], v[0:1], off offset:192
	s_waitcnt vmcnt(0)
	buffer_store_dword v2, off, s[40:43], 0 offset:672 ; 4-byte Folded Spill
	s_nop 0
	buffer_store_dword v3, off, s[40:43], 0 offset:676 ; 4-byte Folded Spill
	buffer_store_dword v4, off, s[40:43], 0 offset:680 ; 4-byte Folded Spill
	buffer_store_dword v5, off, s[40:43], 0 offset:684 ; 4-byte Folded Spill
	;; [unrolled: 7-line block ×4, first 2 shown]
	global_load_dwordx4 v[49:52], v[0:1], off offset:272
	s_nop 0
	global_load_dwordx4 v[2:5], v[0:1], off offset:256
	s_waitcnt vmcnt(0)
	buffer_store_dword v2, off, s[40:43], 0 offset:592 ; 4-byte Folded Spill
	s_nop 0
	buffer_store_dword v3, off, s[40:43], 0 offset:596 ; 4-byte Folded Spill
	buffer_store_dword v4, off, s[40:43], 0 offset:600 ; 4-byte Folded Spill
	buffer_store_dword v5, off, s[40:43], 0 offset:604 ; 4-byte Folded Spill
	global_load_dwordx4 v[2:5], v[0:1], off offset:368
	s_waitcnt vmcnt(0)
	buffer_store_dword v2, off, s[40:43], 0 offset:736 ; 4-byte Folded Spill
	s_nop 0
	buffer_store_dword v3, off, s[40:43], 0 offset:740 ; 4-byte Folded Spill
	buffer_store_dword v4, off, s[40:43], 0 offset:744 ; 4-byte Folded Spill
	buffer_store_dword v5, off, s[40:43], 0 offset:748 ; 4-byte Folded Spill
	;; [unrolled: 7-line block ×5, first 2 shown]
	global_load_dwordx4 v[32:35], v[0:1], off offset:432
	global_load_dwordx4 v[36:39], v[0:1], off offset:416
	s_nop 0
	global_load_dwordx4 v[2:5], v[0:1], off offset:400
	s_waitcnt vmcnt(0)
	buffer_store_dword v2, off, s[40:43], 0 offset:864 ; 4-byte Folded Spill
	s_nop 0
	buffer_store_dword v3, off, s[40:43], 0 offset:868 ; 4-byte Folded Spill
	buffer_store_dword v4, off, s[40:43], 0 offset:872 ; 4-byte Folded Spill
	buffer_store_dword v5, off, s[40:43], 0 offset:876 ; 4-byte Folded Spill
	global_load_dwordx4 v[2:5], v[0:1], off offset:384
	s_waitcnt vmcnt(0)
	buffer_store_dword v2, off, s[40:43], 0 offset:608 ; 4-byte Folded Spill
	s_nop 0
	buffer_store_dword v3, off, s[40:43], 0 offset:612 ; 4-byte Folded Spill
	buffer_store_dword v4, off, s[40:43], 0 offset:616 ; 4-byte Folded Spill
	buffer_store_dword v5, off, s[40:43], 0 offset:620 ; 4-byte Folded Spill
	;; [unrolled: 7-line block ×3, first 2 shown]
	global_load_dwordx4 v[2:5], v[0:1], off offset:480
	s_nop 0
	global_load_dwordx4 v[6:9], v[0:1], off offset:464
	global_load_dwordx4 v[20:23], v[0:1], off offset:448
	v_mov_b32_e32 v0, 0
	v_mov_b32_e32 v1, 0
	buffer_store_dword v0, off, s[40:43], 0 offset:1344 ; 4-byte Folded Spill
	s_nop 0
	buffer_store_dword v1, off, s[40:43], 0 offset:1348 ; 4-byte Folded Spill
	v_mov_b32_e32 v0, 0
	v_mov_b32_e32 v1, 0
	buffer_store_dword v0, off, s[40:43], 0 offset:1352 ; 4-byte Folded Spill
	s_nop 0
	buffer_store_dword v1, off, s[40:43], 0 offset:1356 ; 4-byte Folded Spill
	s_cbranch_scc1 .LBB0_3
; %bb.2:
	v_mov_b32_e32 v1, s11
	v_add_co_u32_e32 v0, vcc, s10, v14
	v_addc_co_u32_e32 v1, vcc, v1, v15, vcc
	global_load_dwordx2 v[0:1], v[0:1], off
	s_waitcnt vmcnt(0)
	buffer_store_dword v0, off, s[40:43], 0 offset:1352 ; 4-byte Folded Spill
	s_nop 0
	buffer_store_dword v1, off, s[40:43], 0 offset:1356 ; 4-byte Folded Spill
.LBB0_3:
	v_mov_b32_e32 v1, s1
	v_add_co_u32_e32 v0, vcc, s0, v14
	buffer_store_dword v28, off, s[40:43], 0 offset:704 ; 4-byte Folded Spill
	s_nop 0
	buffer_store_dword v29, off, s[40:43], 0 offset:708 ; 4-byte Folded Spill
	buffer_store_dword v30, off, s[40:43], 0 offset:712 ; 4-byte Folded Spill
	;; [unrolled: 1-line block ×4, first 2 shown]
	s_nop 0
	buffer_store_dword v25, off, s[40:43], 0 offset:516 ; 4-byte Folded Spill
	buffer_store_dword v26, off, s[40:43], 0 offset:520 ; 4-byte Folded Spill
	;; [unrolled: 1-line block ×3, first 2 shown]
	s_waitcnt vmcnt(12)
	buffer_store_dword v20, off, s[40:43], 0 offset:816 ; 4-byte Folded Spill
	s_nop 0
	buffer_store_dword v21, off, s[40:43], 0 offset:820 ; 4-byte Folded Spill
	buffer_store_dword v22, off, s[40:43], 0 offset:824 ; 4-byte Folded Spill
	buffer_store_dword v23, off, s[40:43], 0 offset:828 ; 4-byte Folded Spill
	buffer_store_dword v6, off, s[40:43], 0 offset:800 ; 4-byte Folded Spill
	s_nop 0
	buffer_store_dword v7, off, s[40:43], 0 offset:804 ; 4-byte Folded Spill
	buffer_store_dword v8, off, s[40:43], 0 offset:808 ; 4-byte Folded Spill
	buffer_store_dword v9, off, s[40:43], 0 offset:812 ; 4-byte Folded Spill
	;; [unrolled: 5-line block ×4, first 2 shown]
	v_addc_co_u32_e32 v1, vcc, v1, v15, vcc
	global_load_dwordx2 v[2:3], v[0:1], off
	s_andn2_b64 vcc, exec, s[6:7]
	s_waitcnt vmcnt(0)
	buffer_store_dword v2, off, s[40:43], 0 offset:1168 ; 4-byte Folded Spill
	s_nop 0
	buffer_store_dword v3, off, s[40:43], 0 offset:1172 ; 4-byte Folded Spill
	buffer_store_dword v4, off, s[40:43], 0 offset:1176 ; 4-byte Folded Spill
	;; [unrolled: 1-line block ×15, first 2 shown]
	v_cndmask_b32_e64 v16, 0, 1, s[6:7]
	v_cmp_ne_u32_e64 s[0:1], 1, v16
	s_cbranch_vccnz .LBB0_5
; %bb.4:
	v_mov_b32_e32 v17, s11
	v_add_co_u32_e32 v16, vcc, s10, v14
	v_addc_co_u32_e32 v17, vcc, v17, v15, vcc
	global_load_dwordx2 v[2:3], v[16:17], off offset:8
	s_waitcnt vmcnt(0)
	buffer_store_dword v2, off, s[40:43], 0 offset:1344 ; 4-byte Folded Spill
	s_nop 0
	buffer_store_dword v3, off, s[40:43], 0 offset:1348 ; 4-byte Folded Spill
.LBB0_5:
	buffer_load_dword v16, off, s[40:43], 0 offset:1168 ; 4-byte Folded Reload
	buffer_load_dword v17, off, s[40:43], 0 offset:1172 ; 4-byte Folded Reload
	;; [unrolled: 1-line block ×16, first 2 shown]
	global_load_dwordx2 v[18:19], v[0:1], off offset:8
	v_mov_b32_e32 v2, 0
	v_mov_b32_e32 v3, 0
	s_and_b64 vcc, exec, s[0:1]
	s_waitcnt vmcnt(16)
	buffer_store_dword v16, off, s[40:43], 0 offset:1168 ; 4-byte Folded Spill
	s_waitcnt vmcnt(16)
	buffer_store_dword v17, off, s[40:43], 0 offset:1172 ; 4-byte Folded Spill
	;; [unrolled: 2-line block ×3, first 2 shown]
	buffer_store_dword v19, off, s[40:43], 0 offset:1180 ; 4-byte Folded Spill
	buffer_store_dword v20, off, s[40:43], 0 offset:1184 ; 4-byte Folded Spill
	;; [unrolled: 1-line block ×14, first 2 shown]
	s_nop 0
	buffer_store_dword v3, off, s[40:43], 0 offset:1364 ; 4-byte Folded Spill
	v_mov_b32_e32 v2, 0
	v_mov_b32_e32 v3, 0
	buffer_store_dword v2, off, s[40:43], 0 offset:1368 ; 4-byte Folded Spill
	s_nop 0
	buffer_store_dword v3, off, s[40:43], 0 offset:1372 ; 4-byte Folded Spill
	s_cbranch_vccnz .LBB0_7
; %bb.6:
	v_mov_b32_e32 v17, s11
	v_add_co_u32_e32 v16, vcc, s10, v14
	v_addc_co_u32_e32 v17, vcc, v17, v15, vcc
	global_load_dwordx2 v[2:3], v[16:17], off offset:16
	s_waitcnt vmcnt(0)
	buffer_store_dword v2, off, s[40:43], 0 offset:1368 ; 4-byte Folded Spill
	s_nop 0
	buffer_store_dword v3, off, s[40:43], 0 offset:1372 ; 4-byte Folded Spill
.LBB0_7:
	buffer_load_dword v16, off, s[40:43], 0 offset:1168 ; 4-byte Folded Reload
	buffer_load_dword v17, off, s[40:43], 0 offset:1172 ; 4-byte Folded Reload
	;; [unrolled: 1-line block ×16, first 2 shown]
	global_load_dwordx2 v[20:21], v[0:1], off offset:16
	s_and_b64 vcc, exec, s[0:1]
	s_waitcnt vmcnt(16)
	buffer_store_dword v16, off, s[40:43], 0 offset:1168 ; 4-byte Folded Spill
	s_waitcnt vmcnt(16)
	buffer_store_dword v17, off, s[40:43], 0 offset:1172 ; 4-byte Folded Spill
	;; [unrolled: 2-line block ×5, first 2 shown]
	buffer_store_dword v21, off, s[40:43], 0 offset:1188 ; 4-byte Folded Spill
	buffer_store_dword v22, off, s[40:43], 0 offset:1192 ; 4-byte Folded Spill
	;; [unrolled: 1-line block ×11, first 2 shown]
	s_cbranch_vccnz .LBB0_9
; %bb.8:
	v_mov_b32_e32 v17, s11
	v_add_co_u32_e32 v16, vcc, s10, v14
	v_addc_co_u32_e32 v17, vcc, v17, v15, vcc
	global_load_dwordx2 v[2:3], v[16:17], off offset:24
	s_waitcnt vmcnt(0)
	buffer_store_dword v2, off, s[40:43], 0 offset:1360 ; 4-byte Folded Spill
	s_nop 0
	buffer_store_dword v3, off, s[40:43], 0 offset:1364 ; 4-byte Folded Spill
.LBB0_9:
	buffer_load_dword v16, off, s[40:43], 0 offset:1168 ; 4-byte Folded Reload
	buffer_load_dword v17, off, s[40:43], 0 offset:1172 ; 4-byte Folded Reload
	buffer_load_dword v18, off, s[40:43], 0 offset:1176 ; 4-byte Folded Reload
	buffer_load_dword v19, off, s[40:43], 0 offset:1180 ; 4-byte Folded Reload
	buffer_load_dword v20, off, s[40:43], 0 offset:1184 ; 4-byte Folded Reload
	buffer_load_dword v21, off, s[40:43], 0 offset:1188 ; 4-byte Folded Reload
	buffer_load_dword v22, off, s[40:43], 0 offset:1192 ; 4-byte Folded Reload
	buffer_load_dword v23, off, s[40:43], 0 offset:1196 ; 4-byte Folded Reload
	buffer_load_dword v24, off, s[40:43], 0 offset:1200 ; 4-byte Folded Reload
	buffer_load_dword v25, off, s[40:43], 0 offset:1204 ; 4-byte Folded Reload
	buffer_load_dword v26, off, s[40:43], 0 offset:1208 ; 4-byte Folded Reload
	buffer_load_dword v27, off, s[40:43], 0 offset:1212 ; 4-byte Folded Reload
	buffer_load_dword v28, off, s[40:43], 0 offset:1216 ; 4-byte Folded Reload
	buffer_load_dword v29, off, s[40:43], 0 offset:1220 ; 4-byte Folded Reload
	buffer_load_dword v30, off, s[40:43], 0 offset:1224 ; 4-byte Folded Reload
	buffer_load_dword v31, off, s[40:43], 0 offset:1228 ; 4-byte Folded Reload
	global_load_dwordx2 v[22:23], v[0:1], off offset:24
	v_mov_b32_e32 v2, 0
	v_mov_b32_e32 v3, 0
	s_and_b64 vcc, exec, s[0:1]
	s_waitcnt vmcnt(16)
	buffer_store_dword v16, off, s[40:43], 0 offset:1168 ; 4-byte Folded Spill
	s_waitcnt vmcnt(16)
	buffer_store_dword v17, off, s[40:43], 0 offset:1172 ; 4-byte Folded Spill
	;; [unrolled: 2-line block ×7, first 2 shown]
	buffer_store_dword v23, off, s[40:43], 0 offset:1196 ; 4-byte Folded Spill
	buffer_store_dword v24, off, s[40:43], 0 offset:1200 ; 4-byte Folded Spill
	;; [unrolled: 1-line block ×10, first 2 shown]
	s_nop 0
	buffer_store_dword v3, off, s[40:43], 0 offset:1380 ; 4-byte Folded Spill
	v_mov_b32_e32 v2, 0
	v_mov_b32_e32 v3, 0
	buffer_store_dword v2, off, s[40:43], 0 offset:1384 ; 4-byte Folded Spill
	s_nop 0
	buffer_store_dword v3, off, s[40:43], 0 offset:1388 ; 4-byte Folded Spill
	s_cbranch_vccnz .LBB0_11
; %bb.10:
	v_mov_b32_e32 v17, s11
	v_add_co_u32_e32 v16, vcc, s10, v14
	v_addc_co_u32_e32 v17, vcc, v17, v15, vcc
	global_load_dwordx2 v[2:3], v[16:17], off offset:32
	s_waitcnt vmcnt(0)
	buffer_store_dword v2, off, s[40:43], 0 offset:1384 ; 4-byte Folded Spill
	s_nop 0
	buffer_store_dword v3, off, s[40:43], 0 offset:1388 ; 4-byte Folded Spill
.LBB0_11:
	buffer_load_dword v16, off, s[40:43], 0 offset:1168 ; 4-byte Folded Reload
	buffer_load_dword v17, off, s[40:43], 0 offset:1172 ; 4-byte Folded Reload
	;; [unrolled: 1-line block ×16, first 2 shown]
	global_load_dwordx2 v[24:25], v[0:1], off offset:32
	s_and_b64 vcc, exec, s[0:1]
	s_waitcnt vmcnt(16)
	buffer_store_dword v16, off, s[40:43], 0 offset:1168 ; 4-byte Folded Spill
	s_waitcnt vmcnt(16)
	buffer_store_dword v17, off, s[40:43], 0 offset:1172 ; 4-byte Folded Spill
	s_waitcnt vmcnt(16)
	buffer_store_dword v18, off, s[40:43], 0 offset:1176 ; 4-byte Folded Spill
	s_waitcnt vmcnt(16)
	buffer_store_dword v19, off, s[40:43], 0 offset:1180 ; 4-byte Folded Spill
	s_waitcnt vmcnt(16)
	buffer_store_dword v20, off, s[40:43], 0 offset:1184 ; 4-byte Folded Spill
	s_waitcnt vmcnt(16)
	buffer_store_dword v21, off, s[40:43], 0 offset:1188 ; 4-byte Folded Spill
	s_waitcnt vmcnt(16)
	buffer_store_dword v22, off, s[40:43], 0 offset:1192 ; 4-byte Folded Spill
	s_waitcnt vmcnt(16)
	buffer_store_dword v23, off, s[40:43], 0 offset:1196 ; 4-byte Folded Spill
	s_waitcnt vmcnt(8)
	buffer_store_dword v24, off, s[40:43], 0 offset:1200 ; 4-byte Folded Spill
	buffer_store_dword v25, off, s[40:43], 0 offset:1204 ; 4-byte Folded Spill
	buffer_store_dword v26, off, s[40:43], 0 offset:1208 ; 4-byte Folded Spill
	;; [unrolled: 1-line block ×7, first 2 shown]
	s_cbranch_vccnz .LBB0_13
; %bb.12:
	v_mov_b32_e32 v17, s11
	v_add_co_u32_e32 v16, vcc, s10, v14
	v_addc_co_u32_e32 v17, vcc, v17, v15, vcc
	global_load_dwordx2 v[2:3], v[16:17], off offset:40
	s_waitcnt vmcnt(0)
	buffer_store_dword v2, off, s[40:43], 0 offset:1376 ; 4-byte Folded Spill
	s_nop 0
	buffer_store_dword v3, off, s[40:43], 0 offset:1380 ; 4-byte Folded Spill
.LBB0_13:
	buffer_load_dword v16, off, s[40:43], 0 offset:1168 ; 4-byte Folded Reload
	buffer_load_dword v17, off, s[40:43], 0 offset:1172 ; 4-byte Folded Reload
	;; [unrolled: 1-line block ×16, first 2 shown]
	global_load_dwordx2 v[26:27], v[0:1], off offset:40
	v_mov_b32_e32 v2, 0
	v_mov_b32_e32 v3, 0
	s_and_b64 vcc, exec, s[0:1]
	s_waitcnt vmcnt(16)
	buffer_store_dword v16, off, s[40:43], 0 offset:1168 ; 4-byte Folded Spill
	s_waitcnt vmcnt(16)
	buffer_store_dword v17, off, s[40:43], 0 offset:1172 ; 4-byte Folded Spill
	s_waitcnt vmcnt(16)
	buffer_store_dword v18, off, s[40:43], 0 offset:1176 ; 4-byte Folded Spill
	s_waitcnt vmcnt(16)
	buffer_store_dword v19, off, s[40:43], 0 offset:1180 ; 4-byte Folded Spill
	s_waitcnt vmcnt(16)
	buffer_store_dword v20, off, s[40:43], 0 offset:1184 ; 4-byte Folded Spill
	s_waitcnt vmcnt(16)
	buffer_store_dword v21, off, s[40:43], 0 offset:1188 ; 4-byte Folded Spill
	s_waitcnt vmcnt(16)
	buffer_store_dword v22, off, s[40:43], 0 offset:1192 ; 4-byte Folded Spill
	s_waitcnt vmcnt(16)
	buffer_store_dword v23, off, s[40:43], 0 offset:1196 ; 4-byte Folded Spill
	s_waitcnt vmcnt(16)
	buffer_store_dword v24, off, s[40:43], 0 offset:1200 ; 4-byte Folded Spill
	s_waitcnt vmcnt(16)
	buffer_store_dword v25, off, s[40:43], 0 offset:1204 ; 4-byte Folded Spill
	s_waitcnt vmcnt(10)
	buffer_store_dword v26, off, s[40:43], 0 offset:1208 ; 4-byte Folded Spill
	buffer_store_dword v27, off, s[40:43], 0 offset:1212 ; 4-byte Folded Spill
	buffer_store_dword v28, off, s[40:43], 0 offset:1216 ; 4-byte Folded Spill
	;; [unrolled: 1-line block ×6, first 2 shown]
	s_nop 0
	buffer_store_dword v3, off, s[40:43], 0 offset:1396 ; 4-byte Folded Spill
	v_mov_b32_e32 v2, 0
	v_mov_b32_e32 v3, 0
	buffer_store_dword v2, off, s[40:43], 0 offset:1400 ; 4-byte Folded Spill
	s_nop 0
	buffer_store_dword v3, off, s[40:43], 0 offset:1404 ; 4-byte Folded Spill
	s_cbranch_vccnz .LBB0_15
; %bb.14:
	v_mov_b32_e32 v17, s11
	v_add_co_u32_e32 v16, vcc, s10, v14
	v_addc_co_u32_e32 v17, vcc, v17, v15, vcc
	global_load_dwordx2 v[2:3], v[16:17], off offset:48
	s_waitcnt vmcnt(0)
	buffer_store_dword v2, off, s[40:43], 0 offset:1400 ; 4-byte Folded Spill
	s_nop 0
	buffer_store_dword v3, off, s[40:43], 0 offset:1404 ; 4-byte Folded Spill
.LBB0_15:
	buffer_load_dword v16, off, s[40:43], 0 offset:1168 ; 4-byte Folded Reload
	buffer_load_dword v17, off, s[40:43], 0 offset:1172 ; 4-byte Folded Reload
	;; [unrolled: 1-line block ×16, first 2 shown]
	global_load_dwordx2 v[28:29], v[0:1], off offset:48
	s_and_b64 vcc, exec, s[0:1]
	s_waitcnt vmcnt(16)
	buffer_store_dword v16, off, s[40:43], 0 offset:1168 ; 4-byte Folded Spill
	s_waitcnt vmcnt(16)
	buffer_store_dword v17, off, s[40:43], 0 offset:1172 ; 4-byte Folded Spill
	;; [unrolled: 2-line block ×13, first 2 shown]
	buffer_store_dword v29, off, s[40:43], 0 offset:1220 ; 4-byte Folded Spill
	buffer_store_dword v30, off, s[40:43], 0 offset:1224 ; 4-byte Folded Spill
	;; [unrolled: 1-line block ×3, first 2 shown]
	s_cbranch_vccnz .LBB0_17
; %bb.16:
	v_mov_b32_e32 v16, s11
	v_add_co_u32_e32 v14, vcc, s10, v14
	v_addc_co_u32_e32 v15, vcc, v16, v15, vcc
	global_load_dwordx2 v[2:3], v[14:15], off offset:56
	s_waitcnt vmcnt(0)
	buffer_store_dword v2, off, s[40:43], 0 offset:1392 ; 4-byte Folded Spill
	s_nop 0
	buffer_store_dword v3, off, s[40:43], 0 offset:1396 ; 4-byte Folded Spill
.LBB0_17:
	buffer_load_dword v14, off, s[40:43], 0 offset:1168 ; 4-byte Folded Reload
	buffer_load_dword v15, off, s[40:43], 0 offset:1172 ; 4-byte Folded Reload
	;; [unrolled: 1-line block ×16, first 2 shown]
	global_load_dwordx2 v[28:29], v[0:1], off offset:56
	s_load_dword s0, s[4:5], 0x38
	v_mov_b32_e32 v2, v48
	v_ashrrev_i32_e32 v3, 31, v2
	v_mov_b32_e32 v5, 0
	v_lshlrev_b64 v[3:4], 3, v[2:3]
	v_mov_b32_e32 v0, 0
	v_mov_b32_e32 v6, 0
	s_waitcnt lgkmcnt(0)
	s_bitcmp0_b32 s0, 0
	v_mov_b32_e32 v1, 0
	s_waitcnt vmcnt(16)
	buffer_store_dword v14, off, s[40:43], 0 offset:1168 ; 4-byte Folded Spill
	s_waitcnt vmcnt(16)
	buffer_store_dword v15, off, s[40:43], 0 offset:1172 ; 4-byte Folded Spill
	;; [unrolled: 2-line block ×15, first 2 shown]
	buffer_store_dword v29, off, s[40:43], 0 offset:1228 ; 4-byte Folded Spill
	buffer_store_dword v0, off, s[40:43], 0 offset:1896 ; 4-byte Folded Spill
	s_nop 0
	buffer_store_dword v1, off, s[40:43], 0 offset:1900 ; 4-byte Folded Spill
	s_cbranch_scc1 .LBB0_19
; %bb.18:
	s_load_dwordx2 s[0:1], s[4:5], 0x40
	s_waitcnt lgkmcnt(0)
	v_mov_b32_e32 v1, s1
	v_add_co_u32_e32 v0, vcc, s0, v3
	v_addc_co_u32_e32 v1, vcc, v1, v4, vcc
	global_load_dwordx2 v[0:1], v[0:1], off
	s_waitcnt vmcnt(0)
	buffer_store_dword v0, off, s[40:43], 0 offset:1896 ; 4-byte Folded Spill
	s_nop 0
	buffer_store_dword v1, off, s[40:43], 0 offset:1900 ; 4-byte Folded Spill
.LBB0_19:
	s_load_dword s33, s[4:5], 0x8
	s_load_dwordx2 s[6:7], s[4:5], 0x70
	s_load_dwordx2 s[8:9], s[4:5], 0x60
	buffer_store_dword v10, off, s[40:43], 0 offset:272 ; 4-byte Folded Spill
	s_nop 0
	buffer_store_dword v11, off, s[40:43], 0 offset:276 ; 4-byte Folded Spill
	buffer_store_dword v12, off, s[40:43], 0 offset:280 ; 4-byte Folded Spill
	;; [unrolled: 1-line block ×3, first 2 shown]
	buffer_load_dword v14, off, s[40:43], 0 offset:240 ; 4-byte Folded Reload
	buffer_load_dword v15, off, s[40:43], 0 offset:244 ; 4-byte Folded Reload
	;; [unrolled: 1-line block ×12, first 2 shown]
	v_mov_b32_e32 v18, v32
	v_mov_b32_e32 v22, v36
	s_waitcnt lgkmcnt(0)
	s_cmp_lt_i32 s33, 1
	v_mov_b32_e32 v19, v33
	v_mov_b32_e32 v20, v34
	;; [unrolled: 1-line block ×6, first 2 shown]
	buffer_store_dword v40, off, s[40:43], 0 offset:384 ; 4-byte Folded Spill
	s_nop 0
	buffer_store_dword v41, off, s[40:43], 0 offset:388 ; 4-byte Folded Spill
	buffer_store_dword v42, off, s[40:43], 0 offset:392 ; 4-byte Folded Spill
	;; [unrolled: 1-line block ×4, first 2 shown]
	s_nop 0
	buffer_store_dword v45, off, s[40:43], 0 offset:356 ; 4-byte Folded Spill
	buffer_store_dword v46, off, s[40:43], 0 offset:360 ; 4-byte Folded Spill
	;; [unrolled: 1-line block ×3, first 2 shown]
	s_cbranch_scc1 .LBB0_38
; %bb.20:
	v_mov_b32_e32 v0, v2
	buffer_store_dword v3, off, s[40:43], 0 offset:2576 ; 4-byte Folded Spill
	s_nop 0
	buffer_store_dword v4, off, s[40:43], 0 offset:2580 ; 4-byte Folded Spill
	buffer_store_dword v0, off, s[40:43], 0 offset:2568 ; 4-byte Folded Spill
	s_nop 0
	buffer_store_dword v1, off, s[40:43], 0 offset:2572 ; 4-byte Folded Spill
	v_mul_lo_u32 v0, v2, s33
	s_load_dwordx2 s[0:1], s[4:5], 0x0
	s_load_dwordx4 s[12:15], s[4:5], 0x50
	s_waitcnt vmcnt(16)
	v_mov_b32_e32 v56, v13
	v_mov_b32_e32 v55, v12
	v_ashrrev_i32_e32 v1, 31, v0
	v_lshlrev_b64 v[0:1], 3, v[0:1]
	s_waitcnt lgkmcnt(0)
	v_mov_b32_e32 v14, s1
	v_add_co_u32_e32 v2, vcc, s0, v0
	v_addc_co_u32_e32 v3, vcc, v14, v1, vcc
	v_mov_b32_e32 v14, s13
	v_add_co_u32_e32 v30, vcc, s12, v0
	v_addc_co_u32_e32 v31, vcc, v14, v1, vcc
	;; [unrolled: 3-line block ×3, first 2 shown]
	v_mov_b32_e32 v0, 0
	v_mov_b32_e32 v1, 0
	buffer_store_dword v0, off, s[40:43], 0 offset:2552 ; 4-byte Folded Spill
	s_nop 0
	buffer_store_dword v1, off, s[40:43], 0 offset:2556 ; 4-byte Folded Spill
	v_mov_b32_e32 v0, 0x6b47b09a
	v_mov_b32_e32 v1, 0x3fc38538
	buffer_store_dword v0, off, s[40:43], 0 offset:2560 ; 4-byte Folded Spill
	s_nop 0
	buffer_store_dword v1, off, s[40:43], 0 offset:2564 ; 4-byte Folded Spill
	v_mov_b32_e32 v54, v11
	v_mov_b32_e32 v53, v10
	buffer_load_dword v38, off, s[40:43], 0 offset:992 ; 4-byte Folded Reload
	buffer_load_dword v39, off, s[40:43], 0 offset:996 ; 4-byte Folded Reload
	;; [unrolled: 1-line block ×16, first 2 shown]
	s_cmp_lg_u32 s2, 0
	s_mov_b32 s12, 0x55555555
	s_mov_b32 s14, 0xbf559e2b
	;; [unrolled: 1-line block ×9, first 2 shown]
	s_cselect_b64 s[10:11], -1, 0
	s_mov_b32 s13, 0x3fe55555
	s_mov_b32 s15, 0x3fc3ab76
	;; [unrolled: 1-line block ×9, first 2 shown]
	s_movk_i32 s35, 0x204
	s_lshl_b32 s36, s2, 1
.LBB0_21:                               ; =>This Inner Loop Header: Depth=1
	buffer_load_dword v58, off, s[40:43], 0 offset:1008 ; 4-byte Folded Reload
	buffer_load_dword v59, off, s[40:43], 0 offset:1012 ; 4-byte Folded Reload
	;; [unrolled: 1-line block ×4, first 2 shown]
; %bb.22:                               ;   in Loop: Header=BB0_21 Depth=1
	s_nop 0
	buffer_store_dword v22, off, s[40:43], 0 offset:848 ; 4-byte Folded Spill
	s_nop 0
	buffer_store_dword v23, off, s[40:43], 0 offset:852 ; 4-byte Folded Spill
	buffer_store_dword v24, off, s[40:43], 0 offset:856 ; 4-byte Folded Spill
	;; [unrolled: 1-line block ×4, first 2 shown]
	s_nop 0
	buffer_store_dword v19, off, s[40:43], 0 offset:836 ; 4-byte Folded Spill
	buffer_store_dword v20, off, s[40:43], 0 offset:840 ; 4-byte Folded Spill
	;; [unrolled: 1-line block ×4, first 2 shown]
	s_nop 0
	buffer_store_dword v3, off, s[40:43], 0 offset:1908 ; 4-byte Folded Spill
	v_cndmask_b32_e64 v14, 0, 1, s[10:11]
	v_cmp_ne_u32_e64 s[0:1], 1, v14
	s_andn2_b64 vcc, exec, s[10:11]
	global_load_dwordx2 v[0:1], v[2:3], off
	s_cbranch_vccnz .LBB0_24
; %bb.23:                               ;   in Loop: Header=BB0_21 Depth=1
	buffer_load_dword v2, off, s[40:43], 0 offset:1352 ; 4-byte Folded Reload
	buffer_load_dword v3, off, s[40:43], 0 offset:1356 ; 4-byte Folded Reload
	;; [unrolled: 1-line block ×18, first 2 shown]
	s_mov_b64 s[30:31], 0
	s_waitcnt vmcnt(14)
	v_fma_f64 v[14:15], -v[14:15], v[2:3], v[0:1]
	buffer_load_dword v2, off, s[40:43], 0 offset:1344 ; 4-byte Folded Reload
	buffer_load_dword v3, off, s[40:43], 0 offset:1348 ; 4-byte Folded Reload
	s_waitcnt vmcnt(0)
	v_fma_f64 v[14:15], -v[16:17], v[2:3], v[14:15]
	buffer_load_dword v2, off, s[40:43], 0 offset:1368 ; 4-byte Folded Reload
	buffer_load_dword v3, off, s[40:43], 0 offset:1372 ; 4-byte Folded Reload
	;; [unrolled: 4-line block ×7, first 2 shown]
	s_waitcnt vmcnt(0)
	v_fma_f64 v[2:3], -v[28:29], v[2:3], v[14:15]
	s_branch .LBB0_25
.LBB0_24:                               ;   in Loop: Header=BB0_21 Depth=1
	s_mov_b64 s[30:31], -1
                                        ; implicit-def: $vgpr2_vgpr3
.LBB0_25:                               ;   in Loop: Header=BB0_21 Depth=1
	s_andn2_b64 vcc, exec, s[30:31]
	s_waitcnt vmcnt(18)
	buffer_store_dword v8, off, s[40:43], 0 offset:752 ; 4-byte Folded Spill
	s_waitcnt vmcnt(18)
	buffer_store_dword v9, off, s[40:43], 0 offset:756 ; 4-byte Folded Spill
	s_waitcnt vmcnt(18)
	buffer_store_dword v10, off, s[40:43], 0 offset:760 ; 4-byte Folded Spill
	s_waitcnt vmcnt(18)
	buffer_store_dword v11, off, s[40:43], 0 offset:764 ; 4-byte Folded Spill
	buffer_store_dword v49, off, s[40:43], 0 offset:880 ; 4-byte Folded Spill
	s_nop 0
	buffer_store_dword v50, off, s[40:43], 0 offset:884 ; 4-byte Folded Spill
	buffer_store_dword v51, off, s[40:43], 0 offset:888 ; 4-byte Folded Spill
	;; [unrolled: 1-line block ×4, first 2 shown]
	s_nop 0
	buffer_store_dword v5, off, s[40:43], 0 offset:740 ; 4-byte Folded Spill
	buffer_store_dword v6, off, s[40:43], 0 offset:744 ; 4-byte Folded Spill
	;; [unrolled: 1-line block ×3, first 2 shown]
	s_cbranch_vccnz .LBB0_27
; %bb.26:                               ;   in Loop: Header=BB0_21 Depth=1
	buffer_load_dword v14, off, s[40:43], 0 offset:1168 ; 4-byte Folded Reload
	buffer_load_dword v15, off, s[40:43], 0 offset:1172 ; 4-byte Folded Reload
	;; [unrolled: 1-line block ×16, first 2 shown]
	s_waitcnt vmcnt(14)
	v_add_f64 v[2:3], v[0:1], -v[14:15]
.LBB0_27:                               ;   in Loop: Header=BB0_21 Depth=1
	buffer_store_dword v2, off, s[40:43], 0 offset:1944 ; 4-byte Folded Spill
	s_nop 0
	buffer_store_dword v3, off, s[40:43], 0 offset:1948 ; 4-byte Folded Spill
	s_and_b64 vcc, exec, s[0:1]
	global_store_dwordx2 v[30:31], v[2:3], off
	s_waitcnt vmcnt(28)
	v_mov_b32_e32 v3, v58
	v_mov_b32_e32 v4, v59
	s_cbranch_vccnz .LBB0_29
; %bb.28:                               ;   in Loop: Header=BB0_21 Depth=1
	buffer_load_dword v8, off, s[40:43], 0 offset:1352 ; 4-byte Folded Reload
	buffer_load_dword v9, off, s[40:43], 0 offset:1356 ; 4-byte Folded Reload
	;; [unrolled: 1-line block ×8, first 2 shown]
	s_waitcnt vmcnt(4)
	v_mul_f64 v[14:15], v[44:45], v[8:9]
	buffer_load_dword v42, off, s[40:43], 0 offset:544 ; 4-byte Folded Reload
	buffer_load_dword v43, off, s[40:43], 0 offset:548 ; 4-byte Folded Reload
	;; [unrolled: 1-line block ×16, first 2 shown]
	v_mul_f64 v[0:1], v[58:59], v[8:9]
	buffer_load_dword v6, off, s[40:43], 0 offset:1384 ; 4-byte Folded Reload
	buffer_load_dword v7, off, s[40:43], 0 offset:1388 ; 4-byte Folded Reload
	v_fma_f64 v[0:1], v[0:1], v[8:9], 0
	s_waitcnt vmcnt(18)
	v_fma_f64 v[0:1], v[14:15], v[2:3], v[0:1]
	s_waitcnt vmcnt(16)
	v_mul_f64 v[14:15], v[42:43], v[8:9]
	s_waitcnt vmcnt(12)
	v_fma_f64 v[0:1], v[14:15], v[18:19], v[0:1]
	s_waitcnt vmcnt(10)
	v_mul_f64 v[14:15], v[10:11], v[8:9]
	;; [unrolled: 4-line block ×3, first 2 shown]
	buffer_load_dword v48, off, s[40:43], 0 offset:656 ; 4-byte Folded Reload
	buffer_load_dword v49, off, s[40:43], 0 offset:660 ; 4-byte Folded Reload
	;; [unrolled: 1-line block ×12, first 2 shown]
	s_waitcnt vmcnt(12)
	v_fma_f64 v[0:1], v[14:15], v[6:7], v[0:1]
	s_waitcnt vmcnt(10)
	v_mul_f64 v[14:15], v[48:49], v[8:9]
	s_waitcnt vmcnt(6)
	v_fma_f64 v[0:1], v[14:15], v[4:5], v[0:1]
	s_waitcnt vmcnt(4)
	v_mul_f64 v[14:15], v[26:27], v[8:9]
	buffer_load_dword v24, off, s[40:43], 0 offset:816 ; 4-byte Folded Reload
	buffer_load_dword v25, off, s[40:43], 0 offset:820 ; 4-byte Folded Reload
	;; [unrolled: 1-line block ×6, first 2 shown]
	s_waitcnt vmcnt(6)
	v_fma_f64 v[0:1], v[14:15], v[22:23], v[0:1]
	s_waitcnt vmcnt(4)
	v_mul_f64 v[14:15], v[24:25], v[8:9]
	s_waitcnt vmcnt(0)
	v_fma_f64 v[0:1], v[14:15], v[20:21], v[0:1]
	v_mul_f64 v[14:15], v[60:61], v[2:3]
	v_fma_f64 v[0:1], v[14:15], v[8:9], v[0:1]
	v_mul_f64 v[14:15], v[46:47], v[2:3]
	;; [unrolled: 2-line block ×6, first 2 shown]
	buffer_load_dword v50, off, s[40:43], 0 offset:688 ; 4-byte Folded Reload
	buffer_load_dword v51, off, s[40:43], 0 offset:692 ; 4-byte Folded Reload
	;; [unrolled: 1-line block ×8, first 2 shown]
	v_fma_f64 v[0:1], v[14:15], v[4:5], v[0:1]
	v_mul_f64 v[14:15], v[28:29], v[2:3]
	v_fma_f64 v[0:1], v[14:15], v[22:23], v[0:1]
	v_mul_f64 v[14:15], v[26:27], v[2:3]
	v_fma_f64 v[0:1], v[14:15], v[20:21], v[0:1]
	s_waitcnt vmcnt(6)
	v_mul_f64 v[14:15], v[50:51], v[18:19]
	v_fma_f64 v[0:1], v[14:15], v[8:9], v[0:1]
	s_waitcnt vmcnt(2)
	v_mul_f64 v[14:15], v[44:45], v[18:19]
	buffer_load_dword v42, off, s[40:43], 0 offset:720 ; 4-byte Folded Reload
	buffer_load_dword v43, off, s[40:43], 0 offset:724 ; 4-byte Folded Reload
	;; [unrolled: 1-line block ×20, first 2 shown]
	v_fma_f64 v[0:1], v[14:15], v[2:3], v[0:1]
	s_waitcnt vmcnt(18)
	v_mul_f64 v[14:15], v[42:43], v[18:19]
	v_fma_f64 v[0:1], v[14:15], v[18:19], v[0:1]
	s_waitcnt vmcnt(14)
	v_mul_f64 v[14:15], v[10:11], v[18:19]
	;; [unrolled: 3-line block ×4, first 2 shown]
	buffer_load_dword v24, off, s[40:43], 0 offset:800 ; 4-byte Folded Reload
	buffer_load_dword v25, off, s[40:43], 0 offset:804 ; 4-byte Folded Reload
	;; [unrolled: 1-line block ×4, first 2 shown]
	v_fma_f64 v[0:1], v[14:15], v[4:5], v[0:1]
	s_waitcnt vmcnt(6)
	v_mul_f64 v[14:15], v[54:55], v[18:19]
	v_fma_f64 v[0:1], v[14:15], v[22:23], v[0:1]
	s_waitcnt vmcnt(2)
	v_mul_f64 v[14:15], v[24:25], v[18:19]
	v_fma_f64 v[0:1], v[14:15], v[20:21], v[0:1]
	v_mul_f64 v[14:15], v[52:53], v[16:17]
	v_fma_f64 v[0:1], v[14:15], v[8:9], v[0:1]
	;; [unrolled: 2-line block ×7, first 2 shown]
	v_mul_f64 v[14:15], v[56:57], v[16:17]
	v_mov_b32_e32 v56, v58
	v_mov_b32_e32 v57, v59
	;; [unrolled: 1-line block ×4, first 2 shown]
	buffer_load_dword v60, off, s[40:43], 0 offset:976 ; 4-byte Folded Reload
	buffer_load_dword v61, off, s[40:43], 0 offset:980 ; 4-byte Folded Reload
	;; [unrolled: 1-line block ×8, first 2 shown]
	v_fma_f64 v[0:1], v[14:15], v[22:23], v[0:1]
	s_waitcnt vmcnt(8)
	v_mul_f64 v[14:15], v[26:27], v[16:17]
	v_fma_f64 v[0:1], v[14:15], v[20:21], v[0:1]
	s_waitcnt vmcnt(6)
	v_mul_f64 v[14:15], v[60:61], v[6:7]
	v_mov_b32_e32 v61, v59
	v_mov_b32_e32 v60, v58
	;; [unrolled: 1-line block ×4, first 2 shown]
	v_fma_f64 v[0:1], v[14:15], v[8:9], v[0:1]
	s_waitcnt vmcnt(2)
	v_mul_f64 v[14:15], v[44:45], v[6:7]
	buffer_load_dword v42, off, s[40:43], 0 offset:560 ; 4-byte Folded Reload
	buffer_load_dword v43, off, s[40:43], 0 offset:564 ; 4-byte Folded Reload
	;; [unrolled: 1-line block ×20, first 2 shown]
	v_fma_f64 v[0:1], v[14:15], v[2:3], v[0:1]
	s_waitcnt vmcnt(18)
	v_mul_f64 v[14:15], v[42:43], v[6:7]
	v_fma_f64 v[0:1], v[14:15], v[18:19], v[0:1]
	s_waitcnt vmcnt(14)
	v_mul_f64 v[14:15], v[10:11], v[6:7]
	;; [unrolled: 3-line block ×5, first 2 shown]
	buffer_load_dword v24, off, s[40:43], 0 offset:784 ; 4-byte Folded Reload
	buffer_load_dword v25, off, s[40:43], 0 offset:788 ; 4-byte Folded Reload
	buffer_load_dword v26, off, s[40:43], 0 offset:792 ; 4-byte Folded Reload
	buffer_load_dword v27, off, s[40:43], 0 offset:796 ; 4-byte Folded Reload
	v_fma_f64 v[0:1], v[14:15], v[22:23], v[0:1]
	s_waitcnt vmcnt(2)
	v_mul_f64 v[14:15], v[24:25], v[6:7]
	v_fma_f64 v[0:1], v[14:15], v[20:21], v[0:1]
	v_mul_f64 v[14:15], v[62:63], v[4:5]
	v_fma_f64 v[0:1], v[14:15], v[8:9], v[0:1]
	;; [unrolled: 2-line block ×5, first 2 shown]
	v_mul_f64 v[14:15], v[54:55], v[4:5]
	buffer_load_dword v53, off, s[40:43], 0 offset:272 ; 4-byte Folded Reload
	buffer_load_dword v54, off, s[40:43], 0 offset:276 ; 4-byte Folded Reload
	;; [unrolled: 1-line block ×8, first 2 shown]
	v_fma_f64 v[0:1], v[14:15], v[6:7], v[0:1]
	v_mul_f64 v[14:15], v[50:51], v[4:5]
	v_fma_f64 v[0:1], v[14:15], v[4:5], v[0:1]
	v_mul_f64 v[14:15], v[28:29], v[4:5]
	v_fma_f64 v[0:1], v[14:15], v[22:23], v[0:1]
	s_waitcnt vmcnt(8)
	v_mul_f64 v[14:15], v[26:27], v[4:5]
	v_fma_f64 v[0:1], v[14:15], v[20:21], v[0:1]
	s_waitcnt vmcnt(2)
	v_mul_f64 v[14:15], v[44:45], v[22:23]
	buffer_load_dword v42, off, s[40:43], 0 offset:896 ; 4-byte Folded Reload
	buffer_load_dword v43, off, s[40:43], 0 offset:900 ; 4-byte Folded Reload
	;; [unrolled: 1-line block ×16, first 2 shown]
	v_fma_f64 v[0:1], v[14:15], v[8:9], v[0:1]
	s_waitcnt vmcnt(14)
	v_mul_f64 v[14:15], v[42:43], v[22:23]
	v_fma_f64 v[0:1], v[14:15], v[2:3], v[0:1]
	s_waitcnt vmcnt(10)
	v_mul_f64 v[14:15], v[10:11], v[22:23]
	;; [unrolled: 3-line block ×3, first 2 shown]
	v_fma_f64 v[0:1], v[14:15], v[16:17], v[0:1]
	v_mul_f64 v[14:15], v[34:35], v[22:23]
	v_fma_f64 v[0:1], v[14:15], v[6:7], v[0:1]
	s_waitcnt vmcnt(2)
	v_mul_f64 v[14:15], v[26:27], v[22:23]
	buffer_load_dword v24, off, s[40:43], 0 offset:832 ; 4-byte Folded Reload
	buffer_load_dword v25, off, s[40:43], 0 offset:836 ; 4-byte Folded Reload
	;; [unrolled: 1-line block ×4, first 2 shown]
	v_fma_f64 v[0:1], v[14:15], v[4:5], v[0:1]
	s_waitcnt vmcnt(2)
	v_mul_f64 v[14:15], v[24:25], v[22:23]
	v_fma_f64 v[0:1], v[14:15], v[22:23], v[0:1]
	v_mul_f64 v[14:15], v[38:39], v[22:23]
	v_fma_f64 v[0:1], v[14:15], v[20:21], v[0:1]
	;; [unrolled: 2-line block ×8, first 2 shown]
	s_waitcnt vmcnt(0)
	v_mul_f64 v[14:15], v[26:27], v[20:21]
	v_fma_f64 v[0:1], v[14:15], v[22:23], v[0:1]
	v_mul_f64 v[14:15], v[40:41], v[20:21]
	v_fma_f64 v[3:4], v[14:15], v[20:21], v[0:1]
.LBB0_29:                               ;   in Loop: Header=BB0_21 Depth=1
	s_cmp_lt_i32 s34, s2
	global_store_dwordx2 v[32:33], v[3:4], off
	buffer_store_dword v30, off, s[40:43], 0 offset:1912 ; 4-byte Folded Spill
	s_nop 0
	buffer_store_dword v31, off, s[40:43], 0 offset:1916 ; 4-byte Folded Spill
	buffer_store_dword v32, off, s[40:43], 0 offset:1920 ; 4-byte Folded Spill
	s_nop 0
	buffer_store_dword v33, off, s[40:43], 0 offset:1924 ; 4-byte Folded Spill
	;; [unrolled: 3-line block ×3, first 2 shown]
	buffer_store_dword v40, off, s[40:43], 0 offset:1000 ; 4-byte Folded Spill
	buffer_store_dword v41, off, s[40:43], 0 offset:1004 ; 4-byte Folded Spill
	;; [unrolled: 1-line block ×3, first 2 shown]
	s_nop 0
	buffer_store_dword v35, off, s[40:43], 0 offset:580 ; 4-byte Folded Spill
	buffer_store_dword v36, off, s[40:43], 0 offset:584 ; 4-byte Folded Spill
	;; [unrolled: 1-line block ×4, first 2 shown]
	s_nop 0
	buffer_store_dword v4, off, s[40:43], 0 offset:1012 ; 4-byte Folded Spill
	s_cbranch_scc1 .LBB0_31
; %bb.30:                               ;   in Loop: Header=BB0_21 Depth=1
	s_waitcnt vmcnt(30)
	v_frexp_mant_f64_e32 v[0:1], v[3:4]
	v_frexp_exp_i32_f64_e32 v16, v[3:4]
	s_mov_b32 s25, s13
	v_cmp_gt_f64_e32 vcc, s[12:13], v[0:1]
	v_cndmask_b32_e64 v14, 0, 1, vcc
	v_ldexp_f64 v[14:15], v[0:1], v14
	v_subbrev_co_u32_e32 v0, vcc, 0, v16, vcc
	buffer_load_dword v1, off, s[40:43], 0 offset:2560 ; 4-byte Folded Reload
	buffer_load_dword v2, off, s[40:43], 0 offset:2564 ; 4-byte Folded Reload
	v_cmp_class_f64_e64 vcc, v[3:4], s35
	s_waitcnt vmcnt(30)
	v_add_f64 v[18:19], v[14:15], 1.0
	v_add_f64 v[16:17], v[14:15], -1.0
	s_waitcnt vmcnt(28)
	v_add_f64 v[20:21], v[18:19], -1.0
	v_add_f64 v[14:15], v[14:15], -v[20:21]
	v_rcp_f64_e32 v[20:21], v[18:19]
	s_waitcnt vmcnt(26)
	v_fma_f64 v[22:23], -v[18:19], v[20:21], 1.0
	v_fma_f64 v[20:21], v[22:23], v[20:21], v[20:21]
	v_fma_f64 v[22:23], -v[18:19], v[20:21], 1.0
	v_fma_f64 v[20:21], v[22:23], v[20:21], v[20:21]
	v_mul_f64 v[22:23], v[16:17], v[20:21]
	s_waitcnt vmcnt(24)
	v_mul_f64 v[24:25], v[18:19], v[22:23]
	v_fma_f64 v[18:19], v[22:23], v[18:19], -v[24:25]
	v_fma_f64 v[14:15], v[22:23], v[14:15], v[18:19]
	v_add_f64 v[18:19], v[24:25], v[14:15]
	s_waitcnt vmcnt(20)
	v_add_f64 v[28:29], v[16:17], -v[18:19]
	v_add_f64 v[24:25], v[18:19], -v[24:25]
	;; [unrolled: 1-line block ×5, first 2 shown]
	v_add_f64 v[14:15], v[14:15], v[16:17]
	v_add_f64 v[14:15], v[28:29], v[14:15]
	v_mul_f64 v[14:15], v[20:21], v[14:15]
	v_add_f64 v[16:17], v[22:23], v[14:15]
	v_add_f64 v[18:19], v[16:17], -v[22:23]
	v_ldexp_f64 v[22:23], v[16:17], 1
	v_add_f64 v[14:15], v[14:15], -v[18:19]
	v_mul_f64 v[18:19], v[16:17], v[16:17]
	v_ldexp_f64 v[14:15], v[14:15], 1
	s_waitcnt vmcnt(0)
	v_fma_f64 v[20:21], v[18:19], s[14:15], v[1:2]
	v_mul_f64 v[16:17], v[16:17], v[18:19]
	v_cvt_f64_i32_e32 v[0:1], v0
	v_fma_f64 v[20:21], v[18:19], v[20:21], s[16:17]
	v_fma_f64 v[20:21], v[18:19], v[20:21], s[18:19]
	;; [unrolled: 1-line block ×5, first 2 shown]
	v_mul_f64 v[16:17], v[16:17], v[20:21]
	v_add_f64 v[18:19], v[22:23], v[16:17]
	v_add_f64 v[20:21], v[18:19], -v[22:23]
	v_add_f64 v[16:17], v[16:17], -v[20:21]
	v_add_f64 v[14:15], v[14:15], v[16:17]
	v_add_f64 v[16:17], v[18:19], v[14:15]
	v_add_f64 v[18:19], v[16:17], -v[18:19]
	v_add_f64 v[14:15], v[14:15], -v[18:19]
	v_mul_f64 v[18:19], v[0:1], s[26:27]
	v_fma_f64 v[20:21], v[0:1], s[26:27], -v[18:19]
	v_fma_f64 v[0:1], v[0:1], s[28:29], v[20:21]
	v_add_f64 v[20:21], v[18:19], v[0:1]
	v_add_f64 v[18:19], v[20:21], -v[18:19]
	v_add_f64 v[0:1], v[0:1], -v[18:19]
	v_add_f64 v[18:19], v[20:21], v[16:17]
	v_add_f64 v[22:23], v[18:19], -v[20:21]
	v_add_f64 v[24:25], v[18:19], -v[22:23]
	;; [unrolled: 1-line block ×4, first 2 shown]
	v_add_f64 v[16:17], v[16:17], v[20:21]
	v_add_f64 v[20:21], v[0:1], v[14:15]
	v_add_f64 v[22:23], v[20:21], -v[0:1]
	v_add_f64 v[24:25], v[20:21], -v[22:23]
	;; [unrolled: 1-line block ×4, first 2 shown]
	v_add_f64 v[0:1], v[14:15], v[0:1]
	v_add_f64 v[14:15], v[20:21], v[16:17]
	;; [unrolled: 1-line block ×3, first 2 shown]
	v_add_f64 v[18:19], v[16:17], -v[18:19]
	v_add_f64 v[14:15], v[14:15], -v[18:19]
	v_add_f64 v[0:1], v[0:1], v[14:15]
	v_mov_b32_e32 v14, 0x7ff80000
	v_add_f64 v[0:1], v[16:17], v[0:1]
	v_cndmask_b32_e32 v0, v0, v3, vcc
	v_cndmask_b32_e32 v1, v1, v4, vcc
	v_cmp_ngt_f64_e32 vcc, 0, v[3:4]
	v_cndmask_b32_e32 v1, v14, v1, vcc
	v_cmp_nge_f64_e32 vcc, 0, v[3:4]
	v_mov_b32_e32 v14, 0xfff00000
	v_cndmask_b32_e32 v0, 0, v0, vcc
	v_cmp_neq_f64_e32 vcc, 0, v[3:4]
	buffer_load_dword v2, off, s[40:43], 0 offset:2552 ; 4-byte Folded Reload
	buffer_load_dword v3, off, s[40:43], 0 offset:2556 ; 4-byte Folded Reload
	v_cndmask_b32_e32 v1, v14, v1, vcc
	s_waitcnt vmcnt(0)
	v_add_f64 v[2:3], v[2:3], v[0:1]
	buffer_store_dword v2, off, s[40:43], 0 offset:2552 ; 4-byte Folded Spill
	s_nop 0
	buffer_store_dword v3, off, s[40:43], 0 offset:2556 ; 4-byte Folded Spill
.LBB0_31:                               ;   in Loop: Header=BB0_21 Depth=1
	buffer_load_dword v6, off, s[40:43], 0 offset:944 ; 4-byte Folded Reload
	buffer_load_dword v7, off, s[40:43], 0 offset:948 ; 4-byte Folded Reload
	;; [unrolled: 1-line block ×16, first 2 shown]
	s_and_b64 vcc, exec, s[0:1]
	s_waitcnt vmcnt(2)
	v_fma_f64 v[0:1], v[2:3], v[58:59], 0
	s_waitcnt vmcnt(0)
	v_mov_b32_e32 v19, v5
	v_mov_b32_e32 v18, v4
	;; [unrolled: 1-line block ×4, first 2 shown]
	buffer_load_dword v2, off, s[40:43], 0 offset:320 ; 4-byte Folded Reload
	buffer_load_dword v3, off, s[40:43], 0 offset:324 ; 4-byte Folded Reload
	;; [unrolled: 1-line block ×4, first 2 shown]
	s_waitcnt vmcnt(2)
	v_fma_f64 v[16:17], v[2:3], v[60:61], v[0:1]
	v_fma_f64 v[0:1], v[18:19], v[58:59], 0
	s_waitcnt vmcnt(0)
	v_fma_f64 v[18:19], v[4:5], v[60:61], v[0:1]
	buffer_load_dword v2, off, s[40:43], 0 offset:416 ; 4-byte Folded Reload
	buffer_load_dword v3, off, s[40:43], 0 offset:420 ; 4-byte Folded Reload
	;; [unrolled: 1-line block ×8, first 2 shown]
	s_waitcnt vmcnt(6)
	v_fma_f64 v[0:1], v[2:3], v[58:59], 0
	s_waitcnt vmcnt(2)
	v_fma_f64 v[20:21], v[22:23], v[60:61], v[0:1]
	v_fma_f64 v[0:1], v[4:5], v[58:59], 0
	buffer_load_dword v2, off, s[40:43], 0 offset:480 ; 4-byte Folded Reload
	buffer_load_dword v3, off, s[40:43], 0 offset:484 ; 4-byte Folded Reload
	;; [unrolled: 1-line block ×8, first 2 shown]
	s_waitcnt vmcnt(8)
	v_fma_f64 v[22:23], v[24:25], v[60:61], v[0:1]
	s_waitcnt vmcnt(6)
	v_fma_f64 v[0:1], v[2:3], v[58:59], 0
	s_waitcnt vmcnt(2)
	v_fma_f64 v[24:25], v[26:27], v[60:61], v[0:1]
	v_fma_f64 v[0:1], v[4:5], v[58:59], 0
	buffer_load_dword v2, off, s[40:43], 0 offset:464 ; 4-byte Folded Reload
	buffer_load_dword v3, off, s[40:43], 0 offset:468 ; 4-byte Folded Reload
	;; [unrolled: 1-line block ×12, first 2 shown]
	s_waitcnt vmcnt(12)
	v_fma_f64 v[0:1], v[28:29], v[60:61], v[0:1]
	s_waitcnt vmcnt(10)
	v_fma_f64 v[14:15], v[2:3], v[58:59], 0
	;; [unrolled: 2-line block ×3, first 2 shown]
	v_fma_f64 v[18:19], v[32:33], v[48:49], v[18:19]
	buffer_load_dword v30, off, s[40:43], 0 offset:80 ; 4-byte Folded Reload
	buffer_load_dword v31, off, s[40:43], 0 offset:84 ; 4-byte Folded Reload
	;; [unrolled: 1-line block ×4, first 2 shown]
	v_fma_f64 v[28:29], v[4:5], v[58:59], 0
	v_fma_f64 v[14:15], v[53:54], v[60:61], v[14:15]
	;; [unrolled: 1-line block ×3, first 2 shown]
	buffer_load_dword v56, off, s[40:43], 0 offset:496 ; 4-byte Folded Reload
	buffer_load_dword v57, off, s[40:43], 0 offset:500 ; 4-byte Folded Reload
	;; [unrolled: 1-line block ×8, first 2 shown]
	s_waitcnt vmcnt(10)
	v_fma_f64 v[20:21], v[30:31], v[48:49], v[20:21]
	s_waitcnt vmcnt(8)
	v_fma_f64 v[22:23], v[32:33], v[48:49], v[22:23]
	buffer_load_dword v30, off, s[40:43], 0 offset:208 ; 4-byte Folded Reload
	buffer_load_dword v31, off, s[40:43], 0 offset:212 ; 4-byte Folded Reload
	;; [unrolled: 1-line block ×4, first 2 shown]
	s_waitcnt vmcnt(10)
	v_fma_f64 v[24:25], v[56:57], v[48:49], v[24:25]
	s_waitcnt vmcnt(6)
	v_fma_f64 v[14:15], v[40:41], v[48:49], v[14:15]
	v_fma_f64 v[0:1], v[58:59], v[48:49], v[0:1]
	s_waitcnt vmcnt(4)
	v_fma_f64 v[28:29], v[42:43], v[48:49], v[28:29]
	s_waitcnt vmcnt(2)
	;; [unrolled: 2-line block ×3, first 2 shown]
	v_fma_f64 v[18:19], v[32:33], v[50:51], v[18:19]
	buffer_load_dword v30, off, s[40:43], 0 offset:128 ; 4-byte Folded Reload
	buffer_load_dword v31, off, s[40:43], 0 offset:132 ; 4-byte Folded Reload
	buffer_load_dword v32, off, s[40:43], 0 offset:136 ; 4-byte Folded Reload
	buffer_load_dword v33, off, s[40:43], 0 offset:140 ; 4-byte Folded Reload
	s_waitcnt vmcnt(2)
	v_fma_f64 v[20:21], v[30:31], v[50:51], v[20:21]
	s_waitcnt vmcnt(0)
	v_fma_f64 v[22:23], v[32:33], v[50:51], v[22:23]
	buffer_load_dword v30, off, s[40:43], 0 offset:64 ; 4-byte Folded Reload
	buffer_load_dword v31, off, s[40:43], 0 offset:68 ; 4-byte Folded Reload
	buffer_load_dword v32, off, s[40:43], 0 offset:72 ; 4-byte Folded Reload
	buffer_load_dword v33, off, s[40:43], 0 offset:76 ; 4-byte Folded Reload
	s_waitcnt vmcnt(2)
	v_fma_f64 v[24:25], v[30:31], v[50:51], v[24:25]
	s_waitcnt vmcnt(0)
	;; [unrolled: 8-line block ×4, first 2 shown]
	v_mov_b32_e32 v51, v33
	v_fma_f64 v[18:19], v[32:33], v[44:45], v[18:19]
	v_mov_b32_e32 v50, v32
	v_mov_b32_e32 v49, v31
	;; [unrolled: 1-line block ×3, first 2 shown]
	buffer_load_dword v30, off, s[40:43], 0 offset:144 ; 4-byte Folded Reload
	buffer_load_dword v31, off, s[40:43], 0 offset:148 ; 4-byte Folded Reload
	;; [unrolled: 1-line block ×4, first 2 shown]
	s_waitcnt vmcnt(2)
	v_fma_f64 v[20:21], v[30:31], v[44:45], v[20:21]
	s_waitcnt vmcnt(0)
	v_fma_f64 v[22:23], v[32:33], v[44:45], v[22:23]
	buffer_load_dword v30, off, s[40:43], 0 ; 4-byte Folded Reload
	buffer_load_dword v31, off, s[40:43], 0 offset:4 ; 4-byte Folded Reload
	buffer_load_dword v32, off, s[40:43], 0 offset:8 ; 4-byte Folded Reload
	;; [unrolled: 1-line block ×3, first 2 shown]
	s_waitcnt vmcnt(2)
	v_fma_f64 v[24:25], v[30:31], v[44:45], v[24:25]
	s_waitcnt vmcnt(0)
	v_fma_f64 v[0:1], v[32:33], v[44:45], v[0:1]
	buffer_load_dword v30, off, s[40:43], 0 offset:32 ; 4-byte Folded Reload
	buffer_load_dword v31, off, s[40:43], 0 offset:36 ; 4-byte Folded Reload
	;; [unrolled: 1-line block ×4, first 2 shown]
	s_waitcnt vmcnt(2)
	v_fma_f64 v[14:15], v[30:31], v[44:45], v[14:15]
	s_waitcnt vmcnt(0)
	v_fma_f64 v[28:29], v[32:33], v[44:45], v[28:29]
	buffer_load_dword v30, off, s[40:43], 0 offset:384 ; 4-byte Folded Reload
	buffer_load_dword v31, off, s[40:43], 0 offset:388 ; 4-byte Folded Reload
	;; [unrolled: 1-line block ×4, first 2 shown]
	s_waitcnt vmcnt(2)
	v_fma_f64 v[16:17], v[30:31], v[46:47], v[16:17]
	s_waitcnt vmcnt(0)
	v_mov_b32_e32 v63, v33
	v_fma_f64 v[18:19], v[32:33], v[46:47], v[18:19]
	v_mov_b32_e32 v62, v32
	v_mov_b32_e32 v61, v31
	;; [unrolled: 1-line block ×3, first 2 shown]
	buffer_load_dword v30, off, s[40:43], 0 offset:224 ; 4-byte Folded Reload
	buffer_load_dword v31, off, s[40:43], 0 offset:228 ; 4-byte Folded Reload
	;; [unrolled: 1-line block ×8, first 2 shown]
	s_waitcnt vmcnt(6)
	v_fma_f64 v[20:21], v[30:31], v[46:47], v[20:21]
	s_waitcnt vmcnt(2)
	v_fma_f64 v[24:25], v[52:53], v[46:47], v[24:25]
	v_fma_f64 v[22:23], v[32:33], v[46:47], v[22:23]
	buffer_load_dword v32, off, s[40:43], 0 offset:288 ; 4-byte Folded Reload
	buffer_load_dword v33, off, s[40:43], 0 offset:292 ; 4-byte Folded Reload
	;; [unrolled: 1-line block ×8, first 2 shown]
	s_waitcnt vmcnt(8)
	v_fma_f64 v[0:1], v[54:55], v[46:47], v[0:1]
	s_waitcnt vmcnt(6)
	v_fma_f64 v[14:15], v[32:33], v[46:47], v[14:15]
	;; [unrolled: 2-line block ×3, first 2 shown]
	v_fma_f64 v[28:29], v[34:35], v[46:47], v[28:29]
	s_waitcnt vmcnt(0)
	v_fma_f64 v[18:19], v[38:39], v[10:11], v[18:19]
	buffer_load_dword v36, off, s[40:43], 0 offset:48 ; 4-byte Folded Reload
	buffer_load_dword v37, off, s[40:43], 0 offset:52 ; 4-byte Folded Reload
	buffer_load_dword v38, off, s[40:43], 0 offset:56 ; 4-byte Folded Reload
	buffer_load_dword v39, off, s[40:43], 0 offset:60 ; 4-byte Folded Reload
	s_waitcnt vmcnt(2)
	v_fma_f64 v[20:21], v[36:37], v[10:11], v[20:21]
	s_waitcnt vmcnt(0)
	v_fma_f64 v[30:31], v[38:39], v[10:11], v[22:23]
	buffer_load_dword v36, off, s[40:43], 0 offset:16 ; 4-byte Folded Reload
	buffer_load_dword v37, off, s[40:43], 0 offset:20 ; 4-byte Folded Reload
	buffer_load_dword v38, off, s[40:43], 0 offset:24 ; 4-byte Folded Reload
	buffer_load_dword v39, off, s[40:43], 0 offset:28 ; 4-byte Folded Reload
	s_waitcnt vmcnt(2)
	;; [unrolled: 8-line block ×4, first 2 shown]
	v_fma_f64 v[16:17], v[26:27], v[12:13], v[16:17]
	buffer_store_dword v16, off, s[40:43], 0 offset:1488 ; 4-byte Folded Spill
	s_nop 0
	buffer_store_dword v17, off, s[40:43], 0 offset:1492 ; 4-byte Folded Spill
	s_waitcnt vmcnt(2)
	v_fma_f64 v[16:17], v[28:29], v[12:13], v[18:19]
	buffer_store_dword v16, off, s[40:43], 0 offset:1464 ; 4-byte Folded Spill
	s_nop 0
	buffer_store_dword v17, off, s[40:43], 0 offset:1468 ; 4-byte Folded Spill
	buffer_load_dword v16, off, s[40:43], 0 offset:368 ; 4-byte Folded Reload
	s_nop 0
	buffer_load_dword v17, off, s[40:43], 0 offset:372 ; 4-byte Folded Reload
	buffer_load_dword v18, off, s[40:43], 0 offset:376 ; 4-byte Folded Reload
	;; [unrolled: 1-line block ×3, first 2 shown]
	s_waitcnt vmcnt(2)
	v_fma_f64 v[20:21], v[16:17], v[12:13], v[20:21]
	buffer_store_dword v20, off, s[40:43], 0 offset:1456 ; 4-byte Folded Spill
	s_nop 0
	buffer_store_dword v21, off, s[40:43], 0 offset:1460 ; 4-byte Folded Spill
	s_waitcnt vmcnt(2)
	v_fma_f64 v[20:21], v[18:19], v[12:13], v[30:31]
	buffer_store_dword v20, off, s[40:43], 0 offset:1448 ; 4-byte Folded Spill
	s_nop 0
	buffer_store_dword v21, off, s[40:43], 0 offset:1452 ; 4-byte Folded Spill
	v_mov_b32_e32 v31, v19
	v_mov_b32_e32 v30, v18
	;; [unrolled: 1-line block ×4, first 2 shown]
	buffer_load_dword v16, off, s[40:43], 0 offset:304 ; 4-byte Folded Reload
	buffer_load_dword v17, off, s[40:43], 0 offset:308 ; 4-byte Folded Reload
	;; [unrolled: 1-line block ×4, first 2 shown]
	s_waitcnt vmcnt(2)
	v_fma_f64 v[20:21], v[16:17], v[12:13], v[24:25]
	buffer_store_dword v20, off, s[40:43], 0 offset:1440 ; 4-byte Folded Spill
	s_nop 0
	buffer_store_dword v21, off, s[40:43], 0 offset:1444 ; 4-byte Folded Spill
	s_waitcnt vmcnt(2)
	v_fma_f64 v[0:1], v[18:19], v[12:13], v[0:1]
	buffer_store_dword v0, off, s[40:43], 0 offset:1432 ; 4-byte Folded Spill
	s_nop 0
	buffer_store_dword v1, off, s[40:43], 0 offset:1436 ; 4-byte Folded Spill
	v_mov_b32_e32 v39, v19
	v_mov_b32_e32 v38, v18
	;; [unrolled: 1-line block ×4, first 2 shown]
	buffer_load_dword v16, off, s[40:43], 0 offset:256 ; 4-byte Folded Reload
	buffer_load_dword v17, off, s[40:43], 0 offset:260 ; 4-byte Folded Reload
	buffer_load_dword v18, off, s[40:43], 0 offset:264 ; 4-byte Folded Reload
	buffer_load_dword v19, off, s[40:43], 0 offset:268 ; 4-byte Folded Reload
	s_waitcnt vmcnt(2)
	v_fma_f64 v[0:1], v[16:17], v[12:13], v[14:15]
	buffer_store_dword v0, off, s[40:43], 0 offset:1424 ; 4-byte Folded Spill
	s_nop 0
	buffer_store_dword v1, off, s[40:43], 0 offset:1428 ; 4-byte Folded Spill
	s_waitcnt vmcnt(2)
	v_fma_f64 v[0:1], v[18:19], v[12:13], v[10:11]
	buffer_store_dword v0, off, s[40:43], 0 offset:1416 ; 4-byte Folded Spill
	s_nop 0
	buffer_store_dword v1, off, s[40:43], 0 offset:1420 ; 4-byte Folded Spill
	buffer_load_dword v14, off, s[40:43], 0 offset:400 ; 4-byte Folded Reload
	buffer_load_dword v15, off, s[40:43], 0 offset:404 ; 4-byte Folded Reload
	buffer_load_dword v16, off, s[40:43], 0 offset:408 ; 4-byte Folded Reload
	buffer_load_dword v17, off, s[40:43], 0 offset:412 ; 4-byte Folded Reload
	buffer_load_dword v10, off, s[40:43], 0 offset:320 ; 4-byte Folded Reload
	buffer_load_dword v11, off, s[40:43], 0 offset:324 ; 4-byte Folded Reload
	buffer_load_dword v12, off, s[40:43], 0 offset:328 ; 4-byte Folded Reload
	buffer_load_dword v13, off, s[40:43], 0 offset:332 ; 4-byte Folded Reload
	s_waitcnt vmcnt(6)
	v_fma_f64 v[0:1], v[14:15], v[6:7], 0
	s_waitcnt vmcnt(2)
	v_fma_f64 v[0:1], v[10:11], v[8:9], v[0:1]
	v_fma_f64 v[10:11], v[16:17], v[6:7], 0
	buffer_load_dword v16, off, s[40:43], 0 offset:416 ; 4-byte Folded Reload
	buffer_load_dword v17, off, s[40:43], 0 offset:420 ; 4-byte Folded Reload
	;; [unrolled: 1-line block ×4, first 2 shown]
	s_waitcnt vmcnt(4)
	v_fma_f64 v[10:11], v[12:13], v[8:9], v[10:11]
	s_waitcnt vmcnt(2)
	v_fma_f64 v[12:13], v[16:17], v[6:7], 0
	buffer_load_dword v14, off, s[40:43], 0 offset:176 ; 4-byte Folded Reload
	buffer_load_dword v15, off, s[40:43], 0 offset:180 ; 4-byte Folded Reload
	buffer_load_dword v16, off, s[40:43], 0 offset:184 ; 4-byte Folded Reload
	buffer_load_dword v17, off, s[40:43], 0 offset:188 ; 4-byte Folded Reload
	s_waitcnt vmcnt(2)
	v_fma_f64 v[12:13], v[14:15], v[8:9], v[12:13]
	v_fma_f64 v[14:15], v[18:19], v[6:7], 0
	s_waitcnt vmcnt(0)
	v_fma_f64 v[14:15], v[16:17], v[8:9], v[14:15]
	buffer_load_dword v16, off, s[40:43], 0 offset:480 ; 4-byte Folded Reload
	buffer_load_dword v17, off, s[40:43], 0 offset:484 ; 4-byte Folded Reload
	;; [unrolled: 1-line block ×8, first 2 shown]
	s_waitcnt vmcnt(6)
	v_fma_f64 v[16:17], v[16:17], v[6:7], 0
	s_waitcnt vmcnt(4)
	v_fma_f64 v[18:19], v[18:19], v[6:7], 0
	;; [unrolled: 2-line block ×3, first 2 shown]
	v_fma_f64 v[20:21], v[2:3], v[6:7], 0
	s_waitcnt vmcnt(0)
	v_fma_f64 v[18:19], v[22:23], v[8:9], v[18:19]
	buffer_load_dword v22, off, s[40:43], 0 offset:272 ; 4-byte Folded Reload
	buffer_load_dword v23, off, s[40:43], 0 offset:276 ; 4-byte Folded Reload
	;; [unrolled: 1-line block ×4, first 2 shown]
	v_fma_f64 v[6:7], v[4:5], v[6:7], 0
	buffer_load_dword v2, off, s[40:43], 0 offset:928 ; 4-byte Folded Reload
	buffer_load_dword v3, off, s[40:43], 0 offset:932 ; 4-byte Folded Reload
	;; [unrolled: 1-line block ×8, first 2 shown]
	s_waitcnt vmcnt(10)
	v_fma_f64 v[20:21], v[22:23], v[8:9], v[20:21]
	s_waitcnt vmcnt(8)
	v_fma_f64 v[6:7], v[24:25], v[8:9], v[6:7]
	buffer_load_dword v22, off, s[40:43], 0 offset:80 ; 4-byte Folded Reload
	buffer_load_dword v23, off, s[40:43], 0 offset:84 ; 4-byte Folded Reload
	;; [unrolled: 1-line block ×4, first 2 shown]
	s_waitcnt vmcnt(4)
	v_fma_f64 v[8:9], v[46:47], v[2:3], v[10:11]
	v_fma_f64 v[0:1], v[44:45], v[2:3], v[0:1]
	s_waitcnt vmcnt(2)
	v_fma_f64 v[10:11], v[22:23], v[2:3], v[12:13]
	s_waitcnt vmcnt(0)
	v_fma_f64 v[12:13], v[24:25], v[2:3], v[14:15]
	v_fma_f64 v[14:15], v[56:57], v[2:3], v[16:17]
	;; [unrolled: 1-line block ×4, first 2 shown]
	buffer_load_dword v20, off, s[40:43], 0 offset:208 ; 4-byte Folded Reload
	buffer_load_dword v21, off, s[40:43], 0 offset:212 ; 4-byte Folded Reload
	;; [unrolled: 1-line block ×4, first 2 shown]
	v_fma_f64 v[2:3], v[42:43], v[2:3], v[6:7]
	s_waitcnt vmcnt(2)
	v_fma_f64 v[0:1], v[20:21], v[4:5], v[0:1]
	s_waitcnt vmcnt(0)
	v_fma_f64 v[6:7], v[22:23], v[4:5], v[8:9]
	buffer_load_dword v20, off, s[40:43], 0 offset:128 ; 4-byte Folded Reload
	buffer_load_dword v21, off, s[40:43], 0 offset:132 ; 4-byte Folded Reload
	buffer_load_dword v22, off, s[40:43], 0 offset:136 ; 4-byte Folded Reload
	buffer_load_dword v23, off, s[40:43], 0 offset:140 ; 4-byte Folded Reload
	s_waitcnt vmcnt(2)
	v_fma_f64 v[8:9], v[20:21], v[4:5], v[10:11]
	s_waitcnt vmcnt(0)
	v_fma_f64 v[10:11], v[22:23], v[4:5], v[12:13]
	buffer_load_dword v20, off, s[40:43], 0 offset:64 ; 4-byte Folded Reload
	buffer_load_dword v21, off, s[40:43], 0 offset:68 ; 4-byte Folded Reload
	buffer_load_dword v22, off, s[40:43], 0 offset:72 ; 4-byte Folded Reload
	buffer_load_dword v23, off, s[40:43], 0 offset:76 ; 4-byte Folded Reload
	;; [unrolled: 8-line block ×3, first 2 shown]
	s_waitcnt vmcnt(2)
	v_fma_f64 v[16:17], v[20:21], v[4:5], v[18:19]
	buffer_load_dword v18, off, s[40:43], 0 offset:912 ; 4-byte Folded Reload
	buffer_load_dword v19, off, s[40:43], 0 offset:916 ; 4-byte Folded Reload
	;; [unrolled: 1-line block ×4, first 2 shown]
	s_waitcnt vmcnt(4)
	v_fma_f64 v[2:3], v[22:23], v[4:5], v[2:3]
	buffer_load_dword v22, off, s[40:43], 0 offset:144 ; 4-byte Folded Reload
	buffer_load_dword v23, off, s[40:43], 0 offset:148 ; 4-byte Folded Reload
	;; [unrolled: 1-line block ×4, first 2 shown]
	s_waitcnt vmcnt(6)
	v_fma_f64 v[4:5], v[50:51], v[18:19], v[6:7]
	v_fma_f64 v[0:1], v[48:49], v[18:19], v[0:1]
	s_waitcnt vmcnt(2)
	v_fma_f64 v[6:7], v[22:23], v[18:19], v[8:9]
	s_waitcnt vmcnt(0)
	v_fma_f64 v[8:9], v[24:25], v[18:19], v[10:11]
	buffer_load_dword v22, off, s[40:43], 0 ; 4-byte Folded Reload
	buffer_load_dword v23, off, s[40:43], 0 offset:4 ; 4-byte Folded Reload
	buffer_load_dword v24, off, s[40:43], 0 offset:8 ; 4-byte Folded Reload
	buffer_load_dword v25, off, s[40:43], 0 offset:12 ; 4-byte Folded Reload
	v_fma_f64 v[4:5], v[62:63], v[20:21], v[4:5]
	v_fma_f64 v[0:1], v[60:61], v[20:21], v[0:1]
	s_waitcnt vmcnt(2)
	v_fma_f64 v[10:11], v[22:23], v[18:19], v[12:13]
	s_waitcnt vmcnt(0)
	v_fma_f64 v[12:13], v[24:25], v[18:19], v[14:15]
	buffer_load_dword v22, off, s[40:43], 0 offset:32 ; 4-byte Folded Reload
	buffer_load_dword v23, off, s[40:43], 0 offset:36 ; 4-byte Folded Reload
	buffer_load_dword v24, off, s[40:43], 0 offset:40 ; 4-byte Folded Reload
	buffer_load_dword v25, off, s[40:43], 0 offset:44 ; 4-byte Folded Reload
	v_fma_f64 v[10:11], v[52:53], v[20:21], v[10:11]
	v_fma_f64 v[12:13], v[54:55], v[20:21], v[12:13]
	s_waitcnt vmcnt(2)
	v_fma_f64 v[14:15], v[22:23], v[18:19], v[16:17]
	s_waitcnt vmcnt(0)
	v_fma_f64 v[2:3], v[24:25], v[18:19], v[2:3]
	buffer_load_dword v16, off, s[40:43], 0 offset:224 ; 4-byte Folded Reload
	;; [unrolled: 10-line block ×3, first 2 shown]
	buffer_load_dword v17, off, s[40:43], 0 offset:900 ; 4-byte Folded Reload
	buffer_load_dword v18, off, s[40:43], 0 offset:904 ; 4-byte Folded Reload
	;; [unrolled: 1-line block ×7, first 2 shown]
	s_waitcnt vmcnt(2)
	v_fma_f64 v[0:1], v[20:21], v[16:17], v[0:1]
	s_waitcnt vmcnt(0)
	v_fma_f64 v[4:5], v[22:23], v[16:17], v[4:5]
	buffer_load_dword v20, off, s[40:43], 0 offset:48 ; 4-byte Folded Reload
	buffer_load_dword v21, off, s[40:43], 0 offset:52 ; 4-byte Folded Reload
	buffer_load_dword v22, off, s[40:43], 0 offset:56 ; 4-byte Folded Reload
	buffer_load_dword v23, off, s[40:43], 0 offset:60 ; 4-byte Folded Reload
	s_waitcnt vmcnt(2)
	v_fma_f64 v[6:7], v[20:21], v[16:17], v[6:7]
	s_waitcnt vmcnt(0)
	v_fma_f64 v[8:9], v[22:23], v[16:17], v[8:9]
	buffer_load_dword v20, off, s[40:43], 0 offset:16 ; 4-byte Folded Reload
	buffer_load_dword v21, off, s[40:43], 0 offset:20 ; 4-byte Folded Reload
	buffer_load_dword v22, off, s[40:43], 0 offset:24 ; 4-byte Folded Reload
	buffer_load_dword v23, off, s[40:43], 0 offset:28 ; 4-byte Folded Reload
	;; [unrolled: 8-line block ×4, first 2 shown]
	s_waitcnt vmcnt(2)
	v_fma_f64 v[0:1], v[20:21], v[18:19], v[0:1]
	buffer_store_dword v0, off, s[40:43], 0 offset:1816 ; 4-byte Folded Spill
	s_nop 0
	buffer_store_dword v1, off, s[40:43], 0 offset:1820 ; 4-byte Folded Spill
	s_waitcnt vmcnt(2)
	v_fma_f64 v[0:1], v[22:23], v[18:19], v[4:5]
	buffer_store_dword v0, off, s[40:43], 0 offset:1784 ; 4-byte Folded Spill
	s_nop 0
	buffer_store_dword v1, off, s[40:43], 0 offset:1788 ; 4-byte Folded Spill
	v_fma_f64 v[0:1], v[28:29], v[18:19], v[6:7]
	buffer_store_dword v0, off, s[40:43], 0 offset:1736 ; 4-byte Folded Spill
	s_nop 0
	buffer_store_dword v1, off, s[40:43], 0 offset:1740 ; 4-byte Folded Spill
	;; [unrolled: 4-line block ×5, first 2 shown]
	buffer_load_dword v4, off, s[40:43], 0 offset:256 ; 4-byte Folded Reload
	buffer_load_dword v5, off, s[40:43], 0 offset:260 ; 4-byte Folded Reload
	;; [unrolled: 1-line block ×4, first 2 shown]
	s_waitcnt vmcnt(2)
	v_fma_f64 v[0:1], v[4:5], v[18:19], v[14:15]
	buffer_store_dword v0, off, s[40:43], 0 offset:1552 ; 4-byte Folded Spill
	s_nop 0
	buffer_store_dword v1, off, s[40:43], 0 offset:1556 ; 4-byte Folded Spill
	s_waitcnt vmcnt(2)
	v_fma_f64 v[0:1], v[6:7], v[18:19], v[2:3]
	buffer_store_dword v0, off, s[40:43], 0 offset:1544 ; 4-byte Folded Spill
	s_nop 0
	buffer_store_dword v1, off, s[40:43], 0 offset:1548 ; 4-byte Folded Spill
	buffer_load_dword v14, off, s[40:43], 0 offset:544 ; 4-byte Folded Reload
	buffer_load_dword v15, off, s[40:43], 0 offset:548 ; 4-byte Folded Reload
	;; [unrolled: 1-line block ×4, first 2 shown]
	s_nop 0
	buffer_load_dword v0, off, s[40:43], 0 offset:400 ; 4-byte Folded Reload
	buffer_load_dword v1, off, s[40:43], 0 offset:404 ; 4-byte Folded Reload
	;; [unrolled: 1-line block ×8, first 2 shown]
	s_waitcnt vmcnt(6)
	v_fma_f64 v[0:1], v[0:1], v[14:15], 0
	s_waitcnt vmcnt(4)
	v_fma_f64 v[2:3], v[2:3], v[14:15], 0
	;; [unrolled: 2-line block ×4, first 2 shown]
	buffer_load_dword v0, off, s[40:43], 0 offset:416 ; 4-byte Folded Reload
	buffer_load_dword v1, off, s[40:43], 0 offset:420 ; 4-byte Folded Reload
	;; [unrolled: 1-line block ×8, first 2 shown]
	s_waitcnt vmcnt(6)
	v_fma_f64 v[4:5], v[0:1], v[14:15], 0
	s_waitcnt vmcnt(2)
	v_fma_f64 v[4:5], v[6:7], v[16:17], v[4:5]
	v_fma_f64 v[6:7], v[2:3], v[14:15], 0
	s_waitcnt vmcnt(0)
	v_fma_f64 v[6:7], v[8:9], v[16:17], v[6:7]
	buffer_load_dword v8, off, s[40:43], 0 offset:480 ; 4-byte Folded Reload
	buffer_load_dword v9, off, s[40:43], 0 offset:484 ; 4-byte Folded Reload
	;; [unrolled: 1-line block ×8, first 2 shown]
	s_waitcnt vmcnt(6)
	v_fma_f64 v[8:9], v[8:9], v[14:15], 0
	s_waitcnt vmcnt(4)
	v_fma_f64 v[10:11], v[10:11], v[14:15], 0
	s_waitcnt vmcnt(2)
	v_fma_f64 v[8:9], v[0:1], v[16:17], v[8:9]
	s_waitcnt vmcnt(0)
	v_fma_f64 v[10:11], v[2:3], v[16:17], v[10:11]
	buffer_load_dword v0, off, s[40:43], 0 offset:464 ; 4-byte Folded Reload
	buffer_load_dword v1, off, s[40:43], 0 offset:468 ; 4-byte Folded Reload
	;; [unrolled: 1-line block ×8, first 2 shown]
	s_waitcnt vmcnt(6)
	v_fma_f64 v[12:13], v[0:1], v[14:15], 0
	s_waitcnt vmcnt(4)
	v_fma_f64 v[14:15], v[2:3], v[14:15], 0
	s_waitcnt vmcnt(2)
	v_fma_f64 v[12:13], v[18:19], v[16:17], v[12:13]
	s_waitcnt vmcnt(0)
	v_fma_f64 v[14:15], v[20:21], v[16:17], v[14:15]
	buffer_load_dword v16, off, s[40:43], 0 offset:720 ; 4-byte Folded Reload
	buffer_load_dword v17, off, s[40:43], 0 offset:724 ; 4-byte Folded Reload
	buffer_load_dword v18, off, s[40:43], 0 offset:728 ; 4-byte Folded Reload
	buffer_load_dword v19, off, s[40:43], 0 offset:732 ; 4-byte Folded Reload
	buffer_load_dword v20, off, s[40:43], 0 offset:80 ; 4-byte Folded Reload
	buffer_load_dword v21, off, s[40:43], 0 offset:84 ; 4-byte Folded Reload
	buffer_load_dword v22, off, s[40:43], 0 offset:88 ; 4-byte Folded Reload
	buffer_load_dword v23, off, s[40:43], 0 offset:92 ; 4-byte Folded Reload
	s_waitcnt vmcnt(6)
	v_fma_f64 v[0:1], v[44:45], v[16:17], v[24:25]
	s_waitcnt vmcnt(2)
	v_fma_f64 v[4:5], v[20:21], v[16:17], v[4:5]
	v_fma_f64 v[2:3], v[46:47], v[16:17], v[26:27]
	s_waitcnt vmcnt(0)
	v_fma_f64 v[6:7], v[22:23], v[16:17], v[6:7]
	buffer_load_dword v20, off, s[40:43], 0 offset:208 ; 4-byte Folded Reload
	buffer_load_dword v21, off, s[40:43], 0 offset:212 ; 4-byte Folded Reload
	;; [unrolled: 1-line block ×4, first 2 shown]
	v_fma_f64 v[8:9], v[56:57], v[16:17], v[8:9]
	v_fma_f64 v[10:11], v[58:59], v[16:17], v[10:11]
	v_fma_f64 v[12:13], v[40:41], v[16:17], v[12:13]
	v_fma_f64 v[14:15], v[42:43], v[16:17], v[14:15]
	s_waitcnt vmcnt(2)
	v_fma_f64 v[0:1], v[20:21], v[18:19], v[0:1]
	s_waitcnt vmcnt(0)
	v_fma_f64 v[2:3], v[22:23], v[18:19], v[2:3]
	buffer_load_dword v20, off, s[40:43], 0 offset:128 ; 4-byte Folded Reload
	buffer_load_dword v21, off, s[40:43], 0 offset:132 ; 4-byte Folded Reload
	buffer_load_dword v22, off, s[40:43], 0 offset:136 ; 4-byte Folded Reload
	buffer_load_dword v23, off, s[40:43], 0 offset:140 ; 4-byte Folded Reload
	s_waitcnt vmcnt(2)
	v_fma_f64 v[4:5], v[20:21], v[18:19], v[4:5]
	s_waitcnt vmcnt(0)
	v_fma_f64 v[6:7], v[22:23], v[18:19], v[6:7]
	buffer_load_dword v20, off, s[40:43], 0 offset:64 ; 4-byte Folded Reload
	buffer_load_dword v21, off, s[40:43], 0 offset:68 ; 4-byte Folded Reload
	buffer_load_dword v22, off, s[40:43], 0 offset:72 ; 4-byte Folded Reload
	buffer_load_dword v23, off, s[40:43], 0 offset:76 ; 4-byte Folded Reload
	;; [unrolled: 8-line block ×4, first 2 shown]
	buffer_load_dword v20, off, s[40:43], 0 offset:144 ; 4-byte Folded Reload
	buffer_load_dword v21, off, s[40:43], 0 offset:148 ; 4-byte Folded Reload
	;; [unrolled: 1-line block ×4, first 2 shown]
	s_waitcnt vmcnt(6)
	v_fma_f64 v[0:1], v[48:49], v[16:17], v[0:1]
	s_waitcnt vmcnt(2)
	v_fma_f64 v[4:5], v[20:21], v[16:17], v[4:5]
	v_fma_f64 v[2:3], v[50:51], v[16:17], v[2:3]
	s_waitcnt vmcnt(0)
	v_fma_f64 v[6:7], v[22:23], v[16:17], v[6:7]
	buffer_load_dword v20, off, s[40:43], 0 ; 4-byte Folded Reload
	buffer_load_dword v21, off, s[40:43], 0 offset:4 ; 4-byte Folded Reload
	buffer_load_dword v22, off, s[40:43], 0 offset:8 ; 4-byte Folded Reload
	buffer_load_dword v23, off, s[40:43], 0 offset:12 ; 4-byte Folded Reload
	v_fma_f64 v[0:1], v[60:61], v[18:19], v[0:1]
	v_fma_f64 v[2:3], v[62:63], v[18:19], v[2:3]
	s_waitcnt vmcnt(2)
	v_fma_f64 v[8:9], v[20:21], v[16:17], v[8:9]
	s_waitcnt vmcnt(0)
	v_fma_f64 v[10:11], v[22:23], v[16:17], v[10:11]
	buffer_load_dword v20, off, s[40:43], 0 offset:32 ; 4-byte Folded Reload
	buffer_load_dword v21, off, s[40:43], 0 offset:36 ; 4-byte Folded Reload
	buffer_load_dword v22, off, s[40:43], 0 offset:40 ; 4-byte Folded Reload
	buffer_load_dword v23, off, s[40:43], 0 offset:44 ; 4-byte Folded Reload
	v_fma_f64 v[8:9], v[52:53], v[18:19], v[8:9]
	v_fma_f64 v[10:11], v[54:55], v[18:19], v[10:11]
	s_waitcnt vmcnt(2)
	v_fma_f64 v[12:13], v[20:21], v[16:17], v[12:13]
	s_waitcnt vmcnt(0)
	v_fma_f64 v[14:15], v[22:23], v[16:17], v[14:15]
	buffer_load_dword v20, off, s[40:43], 0 offset:224 ; 4-byte Folded Reload
	;; [unrolled: 10-line block ×3, first 2 shown]
	buffer_load_dword v17, off, s[40:43], 0 offset:532 ; 4-byte Folded Reload
	buffer_load_dword v18, off, s[40:43], 0 offset:536 ; 4-byte Folded Reload
	;; [unrolled: 1-line block ×7, first 2 shown]
	s_waitcnt vmcnt(2)
	v_fma_f64 v[0:1], v[20:21], v[16:17], v[0:1]
	s_waitcnt vmcnt(0)
	v_fma_f64 v[2:3], v[22:23], v[16:17], v[2:3]
	buffer_load_dword v20, off, s[40:43], 0 offset:48 ; 4-byte Folded Reload
	buffer_load_dword v21, off, s[40:43], 0 offset:52 ; 4-byte Folded Reload
	buffer_load_dword v22, off, s[40:43], 0 offset:56 ; 4-byte Folded Reload
	buffer_load_dword v23, off, s[40:43], 0 offset:60 ; 4-byte Folded Reload
	s_waitcnt vmcnt(2)
	v_fma_f64 v[4:5], v[20:21], v[16:17], v[4:5]
	s_waitcnt vmcnt(0)
	v_fma_f64 v[6:7], v[22:23], v[16:17], v[6:7]
	buffer_load_dword v20, off, s[40:43], 0 offset:16 ; 4-byte Folded Reload
	buffer_load_dword v21, off, s[40:43], 0 offset:20 ; 4-byte Folded Reload
	buffer_load_dword v22, off, s[40:43], 0 offset:24 ; 4-byte Folded Reload
	buffer_load_dword v23, off, s[40:43], 0 offset:28 ; 4-byte Folded Reload
	;; [unrolled: 8-line block ×4, first 2 shown]
	s_waitcnt vmcnt(2)
	v_fma_f64 v[0:1], v[20:21], v[18:19], v[0:1]
	buffer_store_dword v0, off, s[40:43], 0 offset:1832 ; 4-byte Folded Spill
	s_nop 0
	buffer_store_dword v1, off, s[40:43], 0 offset:1836 ; 4-byte Folded Spill
	s_waitcnt vmcnt(2)
	v_fma_f64 v[0:1], v[22:23], v[18:19], v[2:3]
	buffer_store_dword v0, off, s[40:43], 0 offset:1800 ; 4-byte Folded Spill
	s_nop 0
	buffer_store_dword v1, off, s[40:43], 0 offset:1804 ; 4-byte Folded Spill
	v_fma_f64 v[0:1], v[28:29], v[18:19], v[4:5]
	buffer_store_dword v0, off, s[40:43], 0 offset:1752 ; 4-byte Folded Spill
	s_nop 0
	buffer_store_dword v1, off, s[40:43], 0 offset:1756 ; 4-byte Folded Spill
	;; [unrolled: 4-line block ×5, first 2 shown]
	buffer_load_dword v0, off, s[40:43], 0 offset:256 ; 4-byte Folded Reload
	s_nop 0
	buffer_load_dword v1, off, s[40:43], 0 offset:260 ; 4-byte Folded Reload
	buffer_load_dword v2, off, s[40:43], 0 offset:264 ; 4-byte Folded Reload
	;; [unrolled: 1-line block ×3, first 2 shown]
	v_mov_b32_e32 v36, v40
	v_mov_b32_e32 v37, v41
	;; [unrolled: 1-line block ×4, first 2 shown]
	s_waitcnt vmcnt(2)
	v_fma_f64 v[0:1], v[0:1], v[18:19], v[12:13]
	buffer_store_dword v0, off, s[40:43], 0 offset:1560 ; 4-byte Folded Spill
	s_nop 0
	buffer_store_dword v1, off, s[40:43], 0 offset:1564 ; 4-byte Folded Spill
	s_waitcnt vmcnt(2)
	v_fma_f64 v[0:1], v[2:3], v[18:19], v[14:15]
	buffer_store_dword v0, off, s[40:43], 0 offset:1536 ; 4-byte Folded Spill
	s_nop 0
	buffer_store_dword v1, off, s[40:43], 0 offset:1540 ; 4-byte Folded Spill
	buffer_load_dword v16, off, s[40:43], 0 offset:672 ; 4-byte Folded Reload
	buffer_load_dword v17, off, s[40:43], 0 offset:676 ; 4-byte Folded Reload
	buffer_load_dword v18, off, s[40:43], 0 offset:680 ; 4-byte Folded Reload
	buffer_load_dword v19, off, s[40:43], 0 offset:684 ; 4-byte Folded Reload
	buffer_load_dword v2, off, s[40:43], 0 offset:400 ; 4-byte Folded Reload
	buffer_load_dword v3, off, s[40:43], 0 offset:404 ; 4-byte Folded Reload
	buffer_load_dword v4, off, s[40:43], 0 offset:408 ; 4-byte Folded Reload
	buffer_load_dword v5, off, s[40:43], 0 offset:412 ; 4-byte Folded Reload
	buffer_load_dword v6, off, s[40:43], 0 offset:320 ; 4-byte Folded Reload
	buffer_load_dword v7, off, s[40:43], 0 offset:324 ; 4-byte Folded Reload
	buffer_load_dword v8, off, s[40:43], 0 offset:328 ; 4-byte Folded Reload
	buffer_load_dword v9, off, s[40:43], 0 offset:332 ; 4-byte Folded Reload
	s_waitcnt vmcnt(6)
	v_fma_f64 v[2:3], v[2:3], v[16:17], 0
	s_waitcnt vmcnt(4)
	v_fma_f64 v[4:5], v[4:5], v[16:17], 0
	s_waitcnt vmcnt(2)
	v_fma_f64 v[2:3], v[6:7], v[18:19], v[2:3]
	s_waitcnt vmcnt(0)
	v_fma_f64 v[4:5], v[8:9], v[18:19], v[4:5]
	buffer_load_dword v6, off, s[40:43], 0 offset:416 ; 4-byte Folded Reload
	buffer_load_dword v7, off, s[40:43], 0 offset:420 ; 4-byte Folded Reload
	;; [unrolled: 1-line block ×12, first 2 shown]
	s_waitcnt vmcnt(10)
	v_fma_f64 v[6:7], v[6:7], v[16:17], 0
	s_waitcnt vmcnt(8)
	v_fma_f64 v[8:9], v[8:9], v[16:17], 0
	;; [unrolled: 2-line block ×4, first 2 shown]
	v_fma_f64 v[8:9], v[12:13], v[18:19], v[8:9]
	buffer_load_dword v12, off, s[40:43], 0 offset:240 ; 4-byte Folded Reload
	buffer_load_dword v13, off, s[40:43], 0 offset:244 ; 4-byte Folded Reload
	;; [unrolled: 1-line block ×12, first 2 shown]
	s_waitcnt vmcnt(10)
	v_fma_f64 v[10:11], v[12:13], v[18:19], v[10:11]
	v_fma_f64 v[12:13], v[46:47], v[16:17], 0
	s_waitcnt vmcnt(8)
	v_fma_f64 v[12:13], v[14:15], v[18:19], v[12:13]
	s_waitcnt vmcnt(6)
	;; [unrolled: 2-line block ×5, first 2 shown]
	v_fma_f64 v[16:17], v[26:27], v[18:19], v[16:17]
	buffer_load_dword v18, off, s[40:43], 0 offset:752 ; 4-byte Folded Reload
	buffer_load_dword v19, off, s[40:43], 0 offset:756 ; 4-byte Folded Reload
	;; [unrolled: 1-line block ×8, first 2 shown]
	s_waitcnt vmcnt(6)
	v_fma_f64 v[10:11], v[56:57], v[18:19], v[10:11]
	v_fma_f64 v[12:13], v[58:59], v[18:19], v[12:13]
	;; [unrolled: 1-line block ×4, first 2 shown]
	s_waitcnt vmcnt(2)
	v_fma_f64 v[2:3], v[22:23], v[18:19], v[2:3]
	s_waitcnt vmcnt(0)
	v_fma_f64 v[4:5], v[24:25], v[18:19], v[4:5]
	buffer_load_dword v22, off, s[40:43], 0 offset:80 ; 4-byte Folded Reload
	buffer_load_dword v23, off, s[40:43], 0 offset:84 ; 4-byte Folded Reload
	buffer_load_dword v24, off, s[40:43], 0 offset:88 ; 4-byte Folded Reload
	buffer_load_dword v25, off, s[40:43], 0 offset:92 ; 4-byte Folded Reload
	s_waitcnt vmcnt(2)
	v_fma_f64 v[6:7], v[22:23], v[18:19], v[6:7]
	s_waitcnt vmcnt(0)
	v_fma_f64 v[8:9], v[24:25], v[18:19], v[8:9]
	buffer_load_dword v22, off, s[40:43], 0 offset:208 ; 4-byte Folded Reload
	buffer_load_dword v23, off, s[40:43], 0 offset:212 ; 4-byte Folded Reload
	buffer_load_dword v24, off, s[40:43], 0 offset:216 ; 4-byte Folded Reload
	buffer_load_dword v25, off, s[40:43], 0 offset:220 ; 4-byte Folded Reload
	;; [unrolled: 8-line block ×6, first 2 shown]
	buffer_load_dword v22, off, s[40:43], 0 offset:144 ; 4-byte Folded Reload
	buffer_load_dword v23, off, s[40:43], 0 offset:148 ; 4-byte Folded Reload
	buffer_load_dword v24, off, s[40:43], 0 offset:152 ; 4-byte Folded Reload
	buffer_load_dword v25, off, s[40:43], 0 offset:156 ; 4-byte Folded Reload
	s_waitcnt vmcnt(6)
	v_fma_f64 v[2:3], v[48:49], v[18:19], v[2:3]
	s_waitcnt vmcnt(2)
	v_fma_f64 v[6:7], v[22:23], v[18:19], v[6:7]
	v_fma_f64 v[4:5], v[50:51], v[18:19], v[4:5]
	s_waitcnt vmcnt(0)
	v_fma_f64 v[8:9], v[24:25], v[18:19], v[8:9]
	buffer_load_dword v22, off, s[40:43], 0 ; 4-byte Folded Reload
	buffer_load_dword v23, off, s[40:43], 0 offset:4 ; 4-byte Folded Reload
	buffer_load_dword v24, off, s[40:43], 0 offset:8 ; 4-byte Folded Reload
	buffer_load_dword v25, off, s[40:43], 0 offset:12 ; 4-byte Folded Reload
	v_fma_f64 v[2:3], v[60:61], v[20:21], v[2:3]
	v_fma_f64 v[4:5], v[62:63], v[20:21], v[4:5]
	s_waitcnt vmcnt(2)
	v_fma_f64 v[10:11], v[22:23], v[18:19], v[10:11]
	s_waitcnt vmcnt(0)
	v_fma_f64 v[12:13], v[24:25], v[18:19], v[12:13]
	buffer_load_dword v22, off, s[40:43], 0 offset:32 ; 4-byte Folded Reload
	buffer_load_dword v23, off, s[40:43], 0 offset:36 ; 4-byte Folded Reload
	buffer_load_dword v24, off, s[40:43], 0 offset:40 ; 4-byte Folded Reload
	buffer_load_dword v25, off, s[40:43], 0 offset:44 ; 4-byte Folded Reload
	v_fma_f64 v[10:11], v[52:53], v[20:21], v[10:11]
	v_fma_f64 v[12:13], v[54:55], v[20:21], v[12:13]
	s_waitcnt vmcnt(2)
	v_fma_f64 v[14:15], v[22:23], v[18:19], v[14:15]
	s_waitcnt vmcnt(0)
	v_fma_f64 v[16:17], v[24:25], v[18:19], v[16:17]
	buffer_load_dword v22, off, s[40:43], 0 offset:224 ; 4-byte Folded Reload
	;; [unrolled: 10-line block ×3, first 2 shown]
	buffer_load_dword v19, off, s[40:43], 0 offset:516 ; 4-byte Folded Reload
	buffer_load_dword v20, off, s[40:43], 0 offset:520 ; 4-byte Folded Reload
	buffer_load_dword v21, off, s[40:43], 0 offset:524 ; 4-byte Folded Reload
	buffer_load_dword v32, off, s[40:43], 0 offset:352 ; 4-byte Folded Reload
	buffer_load_dword v33, off, s[40:43], 0 offset:356 ; 4-byte Folded Reload
	buffer_load_dword v34, off, s[40:43], 0 offset:360 ; 4-byte Folded Reload
	buffer_load_dword v35, off, s[40:43], 0 offset:364 ; 4-byte Folded Reload
	buffer_load_dword v22, off, s[40:43], 0 offset:48 ; 4-byte Folded Reload
	buffer_load_dword v23, off, s[40:43], 0 offset:52 ; 4-byte Folded Reload
	buffer_load_dword v24, off, s[40:43], 0 offset:56 ; 4-byte Folded Reload
	buffer_load_dword v25, off, s[40:43], 0 offset:60 ; 4-byte Folded Reload
	s_waitcnt vmcnt(6)
	v_fma_f64 v[2:3], v[32:33], v[18:19], v[2:3]
	s_waitcnt vmcnt(2)
	v_fma_f64 v[6:7], v[22:23], v[18:19], v[6:7]
	v_fma_f64 v[4:5], v[34:35], v[18:19], v[4:5]
	s_waitcnt vmcnt(0)
	v_fma_f64 v[8:9], v[24:25], v[18:19], v[8:9]
	buffer_load_dword v22, off, s[40:43], 0 offset:16 ; 4-byte Folded Reload
	buffer_load_dword v23, off, s[40:43], 0 offset:20 ; 4-byte Folded Reload
	;; [unrolled: 1-line block ×4, first 2 shown]
	s_waitcnt vmcnt(2)
	v_fma_f64 v[10:11], v[22:23], v[18:19], v[10:11]
	s_waitcnt vmcnt(0)
	v_fma_f64 v[12:13], v[24:25], v[18:19], v[12:13]
	buffer_load_dword v22, off, s[40:43], 0 offset:160 ; 4-byte Folded Reload
	buffer_load_dword v23, off, s[40:43], 0 offset:164 ; 4-byte Folded Reload
	;; [unrolled: 1-line block ×8, first 2 shown]
	s_waitcnt vmcnt(6)
	v_fma_f64 v[14:15], v[22:23], v[18:19], v[14:15]
	s_waitcnt vmcnt(2)
	v_fma_f64 v[0:1], v[60:61], v[20:21], v[2:3]
	buffer_store_dword v0, off, s[40:43], 0 offset:1496 ; 4-byte Folded Spill
	s_nop 0
	buffer_store_dword v1, off, s[40:43], 0 offset:1500 ; 4-byte Folded Spill
	s_waitcnt vmcnt(2)
	v_fma_f64 v[0:1], v[62:63], v[20:21], v[4:5]
	buffer_store_dword v0, off, s[40:43], 0 offset:1472 ; 4-byte Folded Spill
	s_nop 0
	buffer_store_dword v1, off, s[40:43], 0 offset:1476 ; 4-byte Folded Spill
	v_fma_f64 v[0:1], v[28:29], v[20:21], v[6:7]
	buffer_store_dword v0, off, s[40:43], 0 offset:1760 ; 4-byte Folded Spill
	s_nop 0
	buffer_store_dword v1, off, s[40:43], 0 offset:1764 ; 4-byte Folded Spill
	;; [unrolled: 4-line block ×3, first 2 shown]
	buffer_load_dword v0, off, s[40:43], 0 offset:304 ; 4-byte Folded Reload
	s_nop 0
	buffer_load_dword v1, off, s[40:43], 0 offset:308 ; 4-byte Folded Reload
	buffer_load_dword v2, off, s[40:43], 0 offset:312 ; 4-byte Folded Reload
	;; [unrolled: 1-line block ×3, first 2 shown]
	v_fma_f64 v[16:17], v[24:25], v[18:19], v[16:17]
	v_mov_b32_e32 v27, v25
	v_mov_b32_e32 v26, v24
	v_mov_b32_e32 v25, v23
	v_mov_b32_e32 v24, v22
	s_waitcnt vmcnt(2)
	v_fma_f64 v[0:1], v[0:1], v[20:21], v[10:11]
	buffer_store_dword v0, off, s[40:43], 0 offset:1664 ; 4-byte Folded Spill
	s_nop 0
	buffer_store_dword v1, off, s[40:43], 0 offset:1668 ; 4-byte Folded Spill
	s_waitcnt vmcnt(2)
	v_fma_f64 v[0:1], v[2:3], v[20:21], v[12:13]
	buffer_store_dword v0, off, s[40:43], 0 offset:1616 ; 4-byte Folded Spill
	s_nop 0
	buffer_store_dword v1, off, s[40:43], 0 offset:1620 ; 4-byte Folded Spill
	buffer_load_dword v0, off, s[40:43], 0 offset:256 ; 4-byte Folded Reload
	s_nop 0
	buffer_load_dword v1, off, s[40:43], 0 offset:260 ; 4-byte Folded Reload
	buffer_load_dword v2, off, s[40:43], 0 offset:264 ; 4-byte Folded Reload
	;; [unrolled: 1-line block ×3, first 2 shown]
	s_waitcnt vmcnt(2)
	v_fma_f64 v[0:1], v[0:1], v[20:21], v[14:15]
	buffer_store_dword v0, off, s[40:43], 0 offset:1568 ; 4-byte Folded Spill
	s_nop 0
	buffer_store_dword v1, off, s[40:43], 0 offset:1572 ; 4-byte Folded Spill
	s_waitcnt vmcnt(2)
	v_fma_f64 v[0:1], v[2:3], v[20:21], v[16:17]
	buffer_store_dword v0, off, s[40:43], 0 offset:1528 ; 4-byte Folded Spill
	s_nop 0
	buffer_store_dword v1, off, s[40:43], 0 offset:1532 ; 4-byte Folded Spill
	buffer_load_dword v18, off, s[40:43], 0 offset:592 ; 4-byte Folded Reload
	buffer_load_dword v19, off, s[40:43], 0 offset:596 ; 4-byte Folded Reload
	;; [unrolled: 1-line block ×4, first 2 shown]
	s_nop 0
	buffer_load_dword v0, off, s[40:43], 0 offset:400 ; 4-byte Folded Reload
	buffer_load_dword v1, off, s[40:43], 0 offset:404 ; 4-byte Folded Reload
	;; [unrolled: 1-line block ×8, first 2 shown]
	s_waitcnt vmcnt(10)
	v_fma_f64 v[12:13], v[44:45], v[18:19], 0
	v_fma_f64 v[14:15], v[46:47], v[18:19], 0
	s_waitcnt vmcnt(6)
	v_fma_f64 v[4:5], v[0:1], v[18:19], 0
	s_waitcnt vmcnt(2)
	v_fma_f64 v[4:5], v[6:7], v[20:21], v[4:5]
	v_fma_f64 v[6:7], v[2:3], v[18:19], 0
	s_waitcnt vmcnt(0)
	v_fma_f64 v[6:7], v[8:9], v[20:21], v[6:7]
	buffer_load_dword v8, off, s[40:43], 0 offset:416 ; 4-byte Folded Reload
	buffer_load_dword v9, off, s[40:43], 0 offset:420 ; 4-byte Folded Reload
	;; [unrolled: 1-line block ×8, first 2 shown]
	s_waitcnt vmcnt(6)
	v_fma_f64 v[8:9], v[8:9], v[18:19], 0
	s_waitcnt vmcnt(4)
	v_fma_f64 v[10:11], v[10:11], v[18:19], 0
	;; [unrolled: 2-line block ×4, first 2 shown]
	buffer_load_dword v0, off, s[40:43], 0 offset:240 ; 4-byte Folded Reload
	buffer_load_dword v1, off, s[40:43], 0 offset:244 ; 4-byte Folded Reload
	;; [unrolled: 1-line block ×4, first 2 shown]
	s_waitcnt vmcnt(2)
	v_fma_f64 v[12:13], v[0:1], v[20:21], v[12:13]
	s_waitcnt vmcnt(0)
	v_fma_f64 v[14:15], v[2:3], v[20:21], v[14:15]
	buffer_load_dword v0, off, s[40:43], 0 offset:464 ; 4-byte Folded Reload
	buffer_load_dword v1, off, s[40:43], 0 offset:468 ; 4-byte Folded Reload
	;; [unrolled: 1-line block ×8, first 2 shown]
	s_waitcnt vmcnt(6)
	v_fma_f64 v[16:17], v[0:1], v[18:19], 0
	s_waitcnt vmcnt(4)
	v_fma_f64 v[18:19], v[2:3], v[18:19], 0
	;; [unrolled: 2-line block ×4, first 2 shown]
	buffer_load_dword v20, off, s[40:43], 0 offset:880 ; 4-byte Folded Reload
	buffer_load_dword v21, off, s[40:43], 0 offset:884 ; 4-byte Folded Reload
	;; [unrolled: 1-line block ×8, first 2 shown]
	s_waitcnt vmcnt(6)
	v_fma_f64 v[12:13], v[56:57], v[20:21], v[12:13]
	v_fma_f64 v[14:15], v[58:59], v[20:21], v[14:15]
	;; [unrolled: 1-line block ×4, first 2 shown]
	s_waitcnt vmcnt(2)
	v_fma_f64 v[4:5], v[0:1], v[20:21], v[4:5]
	s_waitcnt vmcnt(0)
	v_fma_f64 v[6:7], v[2:3], v[20:21], v[6:7]
	buffer_load_dword v0, off, s[40:43], 0 offset:80 ; 4-byte Folded Reload
	buffer_load_dword v1, off, s[40:43], 0 offset:84 ; 4-byte Folded Reload
	buffer_load_dword v2, off, s[40:43], 0 offset:88 ; 4-byte Folded Reload
	buffer_load_dword v3, off, s[40:43], 0 offset:92 ; 4-byte Folded Reload
	s_waitcnt vmcnt(2)
	v_fma_f64 v[8:9], v[0:1], v[20:21], v[8:9]
	s_waitcnt vmcnt(0)
	v_fma_f64 v[10:11], v[2:3], v[20:21], v[10:11]
	buffer_load_dword v0, off, s[40:43], 0 offset:208 ; 4-byte Folded Reload
	buffer_load_dword v1, off, s[40:43], 0 offset:212 ; 4-byte Folded Reload
	buffer_load_dword v2, off, s[40:43], 0 offset:216 ; 4-byte Folded Reload
	buffer_load_dword v3, off, s[40:43], 0 offset:220 ; 4-byte Folded Reload
	;; [unrolled: 8-line block ×6, first 2 shown]
	buffer_load_dword v0, off, s[40:43], 0 offset:144 ; 4-byte Folded Reload
	buffer_load_dword v1, off, s[40:43], 0 offset:148 ; 4-byte Folded Reload
	;; [unrolled: 1-line block ×4, first 2 shown]
	s_waitcnt vmcnt(6)
	v_fma_f64 v[4:5], v[48:49], v[20:21], v[4:5]
	s_waitcnt vmcnt(2)
	v_fma_f64 v[8:9], v[0:1], v[20:21], v[8:9]
	v_fma_f64 v[6:7], v[50:51], v[20:21], v[6:7]
	s_waitcnt vmcnt(0)
	v_fma_f64 v[10:11], v[2:3], v[20:21], v[10:11]
	buffer_load_dword v0, off, s[40:43], 0  ; 4-byte Folded Reload
	buffer_load_dword v1, off, s[40:43], 0 offset:4 ; 4-byte Folded Reload
	buffer_load_dword v2, off, s[40:43], 0 offset:8 ; 4-byte Folded Reload
	;; [unrolled: 1-line block ×3, first 2 shown]
	s_waitcnt vmcnt(2)
	v_fma_f64 v[12:13], v[0:1], v[20:21], v[12:13]
	s_waitcnt vmcnt(0)
	v_fma_f64 v[14:15], v[2:3], v[20:21], v[14:15]
	buffer_load_dword v0, off, s[40:43], 0 offset:32 ; 4-byte Folded Reload
	buffer_load_dword v1, off, s[40:43], 0 offset:36 ; 4-byte Folded Reload
	;; [unrolled: 1-line block ×8, first 2 shown]
	v_fma_f64 v[12:13], v[52:53], v[22:23], v[12:13]
	v_fma_f64 v[14:15], v[54:55], v[22:23], v[14:15]
	s_waitcnt vmcnt(6)
	v_fma_f64 v[16:17], v[0:1], v[20:21], v[16:17]
	s_waitcnt vmcnt(2)
	v_fma_f64 v[4:5], v[40:41], v[22:23], v[4:5]
	v_fma_f64 v[18:19], v[2:3], v[20:21], v[18:19]
	buffer_load_dword v0, off, s[40:43], 0 offset:224 ; 4-byte Folded Reload
	buffer_load_dword v1, off, s[40:43], 0 offset:228 ; 4-byte Folded Reload
	;; [unrolled: 1-line block ×4, first 2 shown]
	s_waitcnt vmcnt(4)
	v_fma_f64 v[6:7], v[42:43], v[22:23], v[6:7]
	s_waitcnt vmcnt(2)
	v_fma_f64 v[8:9], v[0:1], v[22:23], v[8:9]
	;; [unrolled: 2-line block ×3, first 2 shown]
	buffer_load_dword v0, off, s[40:43], 0 offset:288 ; 4-byte Folded Reload
	buffer_load_dword v1, off, s[40:43], 0 offset:292 ; 4-byte Folded Reload
	;; [unrolled: 1-line block ×4, first 2 shown]
	s_waitcnt vmcnt(2)
	v_fma_f64 v[16:17], v[0:1], v[22:23], v[16:17]
	s_waitcnt vmcnt(0)
	v_fma_f64 v[18:19], v[2:3], v[22:23], v[18:19]
	buffer_load_dword v20, off, s[40:43], 0 offset:576 ; 4-byte Folded Reload
	buffer_load_dword v21, off, s[40:43], 0 offset:580 ; 4-byte Folded Reload
	;; [unrolled: 1-line block ×8, first 2 shown]
	s_waitcnt vmcnt(6)
	v_fma_f64 v[4:5], v[32:33], v[20:21], v[4:5]
	s_waitcnt vmcnt(2)
	v_fma_f64 v[8:9], v[0:1], v[20:21], v[8:9]
	v_fma_f64 v[6:7], v[34:35], v[20:21], v[6:7]
	s_waitcnt vmcnt(0)
	v_fma_f64 v[10:11], v[2:3], v[20:21], v[10:11]
	buffer_load_dword v0, off, s[40:43], 0 offset:16 ; 4-byte Folded Reload
	buffer_load_dword v1, off, s[40:43], 0 offset:20 ; 4-byte Folded Reload
	;; [unrolled: 1-line block ×4, first 2 shown]
	v_fma_f64 v[16:17], v[24:25], v[20:21], v[16:17]
	v_fma_f64 v[18:19], v[26:27], v[20:21], v[18:19]
	s_waitcnt vmcnt(2)
	v_fma_f64 v[12:13], v[0:1], v[20:21], v[12:13]
	v_fma_f64 v[0:1], v[60:61], v[22:23], v[4:5]
	buffer_store_dword v0, off, s[40:43], 0 offset:1504 ; 4-byte Folded Spill
	s_nop 0
	buffer_store_dword v1, off, s[40:43], 0 offset:1508 ; 4-byte Folded Spill
	v_fma_f64 v[0:1], v[62:63], v[22:23], v[6:7]
	buffer_store_dword v0, off, s[40:43], 0 offset:1808 ; 4-byte Folded Spill
	s_nop 0
	buffer_store_dword v1, off, s[40:43], 0 offset:1812 ; 4-byte Folded Spill
	v_fma_f64 v[0:1], v[28:29], v[22:23], v[8:9]
	buffer_store_dword v0, off, s[40:43], 0 offset:1768 ; 4-byte Folded Spill
	s_nop 0
	buffer_store_dword v1, off, s[40:43], 0 offset:1772 ; 4-byte Folded Spill
	v_fma_f64 v[0:1], v[30:31], v[22:23], v[10:11]
	buffer_store_dword v0, off, s[40:43], 0 offset:1720 ; 4-byte Folded Spill
	s_nop 0
	buffer_store_dword v1, off, s[40:43], 0 offset:1724 ; 4-byte Folded Spill
	s_waitcnt vmcnt(8)
	v_fma_f64 v[14:15], v[2:3], v[20:21], v[14:15]
	buffer_load_dword v0, off, s[40:43], 0 offset:304 ; 4-byte Folded Reload
	buffer_load_dword v1, off, s[40:43], 0 offset:308 ; 4-byte Folded Reload
	;; [unrolled: 1-line block ×4, first 2 shown]
	v_mov_b32_e32 v63, v59
	v_mov_b32_e32 v62, v58
	;; [unrolled: 1-line block ×4, first 2 shown]
	s_waitcnt vmcnt(2)
	v_fma_f64 v[0:1], v[0:1], v[22:23], v[12:13]
	buffer_store_dword v0, off, s[40:43], 0 offset:1672 ; 4-byte Folded Spill
	s_nop 0
	buffer_store_dword v1, off, s[40:43], 0 offset:1676 ; 4-byte Folded Spill
	s_waitcnt vmcnt(2)
	v_fma_f64 v[0:1], v[2:3], v[22:23], v[14:15]
	buffer_store_dword v0, off, s[40:43], 0 offset:1624 ; 4-byte Folded Spill
	s_nop 0
	buffer_store_dword v1, off, s[40:43], 0 offset:1628 ; 4-byte Folded Spill
	buffer_load_dword v0, off, s[40:43], 0 offset:256 ; 4-byte Folded Reload
	s_nop 0
	buffer_load_dword v1, off, s[40:43], 0 offset:260 ; 4-byte Folded Reload
	buffer_load_dword v2, off, s[40:43], 0 offset:264 ; 4-byte Folded Reload
	;; [unrolled: 1-line block ×3, first 2 shown]
	s_waitcnt vmcnt(2)
	v_fma_f64 v[0:1], v[0:1], v[22:23], v[16:17]
	buffer_store_dword v0, off, s[40:43], 0 offset:1576 ; 4-byte Folded Spill
	s_nop 0
	buffer_store_dword v1, off, s[40:43], 0 offset:1580 ; 4-byte Folded Spill
	s_waitcnt vmcnt(2)
	v_fma_f64 v[0:1], v[2:3], v[22:23], v[18:19]
	buffer_store_dword v0, off, s[40:43], 0 offset:1408 ; 4-byte Folded Spill
	s_nop 0
	buffer_store_dword v1, off, s[40:43], 0 offset:1412 ; 4-byte Folded Spill
	buffer_load_dword v20, off, s[40:43], 0 offset:656 ; 4-byte Folded Reload
	buffer_load_dword v21, off, s[40:43], 0 offset:660 ; 4-byte Folded Reload
	;; [unrolled: 1-line block ×12, first 2 shown]
	s_waitcnt vmcnt(6)
	v_fma_f64 v[6:7], v[2:3], v[20:21], 0
	buffer_load_dword v0, off, s[40:43], 0 offset:416 ; 4-byte Folded Reload
	buffer_load_dword v1, off, s[40:43], 0 offset:420 ; 4-byte Folded Reload
	;; [unrolled: 1-line block ×8, first 2 shown]
	s_waitcnt vmcnt(12)
	v_fma_f64 v[8:9], v[4:5], v[20:21], 0
	s_waitcnt vmcnt(10)
	v_fma_f64 v[6:7], v[44:45], v[22:23], v[6:7]
	;; [unrolled: 2-line block ×5, first 2 shown]
	v_fma_f64 v[12:13], v[2:3], v[20:21], 0
	buffer_load_dword v0, off, s[40:43], 0 offset:480 ; 4-byte Folded Reload
	buffer_load_dword v1, off, s[40:43], 0 offset:484 ; 4-byte Folded Reload
	;; [unrolled: 1-line block ×8, first 2 shown]
	s_waitcnt vmcnt(8)
	v_fma_f64 v[12:13], v[14:15], v[22:23], v[12:13]
	s_waitcnt vmcnt(6)
	v_fma_f64 v[14:15], v[0:1], v[20:21], 0
	;; [unrolled: 2-line block ×3, first 2 shown]
	v_fma_f64 v[16:17], v[2:3], v[20:21], 0
	buffer_load_dword v0, off, s[40:43], 0 offset:464 ; 4-byte Folded Reload
	buffer_load_dword v1, off, s[40:43], 0 offset:468 ; 4-byte Folded Reload
	;; [unrolled: 1-line block ×8, first 2 shown]
	s_waitcnt vmcnt(8)
	v_fma_f64 v[16:17], v[18:19], v[22:23], v[16:17]
	s_waitcnt vmcnt(6)
	v_fma_f64 v[18:19], v[0:1], v[20:21], 0
	;; [unrolled: 2-line block ×5, first 2 shown]
	buffer_load_dword v22, off, s[40:43], 0 offset:640 ; 4-byte Folded Reload
	buffer_load_dword v23, off, s[40:43], 0 offset:644 ; 4-byte Folded Reload
	;; [unrolled: 1-line block ×8, first 2 shown]
	s_waitcnt vmcnt(6)
	v_fma_f64 v[14:15], v[56:57], v[22:23], v[14:15]
	v_fma_f64 v[16:17], v[58:59], v[22:23], v[16:17]
	;; [unrolled: 1-line block ×4, first 2 shown]
	s_waitcnt vmcnt(2)
	v_fma_f64 v[6:7], v[0:1], v[22:23], v[6:7]
	s_waitcnt vmcnt(0)
	v_fma_f64 v[8:9], v[2:3], v[22:23], v[8:9]
	buffer_load_dword v0, off, s[40:43], 0 offset:80 ; 4-byte Folded Reload
	buffer_load_dword v1, off, s[40:43], 0 offset:84 ; 4-byte Folded Reload
	buffer_load_dword v2, off, s[40:43], 0 offset:88 ; 4-byte Folded Reload
	buffer_load_dword v3, off, s[40:43], 0 offset:92 ; 4-byte Folded Reload
	s_waitcnt vmcnt(2)
	v_fma_f64 v[10:11], v[0:1], v[22:23], v[10:11]
	s_waitcnt vmcnt(0)
	v_fma_f64 v[12:13], v[2:3], v[22:23], v[12:13]
	buffer_load_dword v0, off, s[40:43], 0 offset:208 ; 4-byte Folded Reload
	buffer_load_dword v1, off, s[40:43], 0 offset:212 ; 4-byte Folded Reload
	buffer_load_dword v2, off, s[40:43], 0 offset:216 ; 4-byte Folded Reload
	buffer_load_dword v3, off, s[40:43], 0 offset:220 ; 4-byte Folded Reload
	;; [unrolled: 8-line block ×6, first 2 shown]
	buffer_load_dword v0, off, s[40:43], 0 offset:336 ; 4-byte Folded Reload
	buffer_load_dword v1, off, s[40:43], 0 offset:340 ; 4-byte Folded Reload
	;; [unrolled: 1-line block ×4, first 2 shown]
	s_waitcnt vmcnt(2)
	v_fma_f64 v[6:7], v[0:1], v[22:23], v[6:7]
	s_waitcnt vmcnt(0)
	v_fma_f64 v[8:9], v[2:3], v[22:23], v[8:9]
	buffer_load_dword v0, off, s[40:43], 0 offset:144 ; 4-byte Folded Reload
	buffer_load_dword v1, off, s[40:43], 0 offset:148 ; 4-byte Folded Reload
	;; [unrolled: 1-line block ×4, first 2 shown]
	s_waitcnt vmcnt(2)
	v_fma_f64 v[10:11], v[0:1], v[22:23], v[10:11]
	s_waitcnt vmcnt(0)
	v_fma_f64 v[12:13], v[2:3], v[22:23], v[12:13]
	buffer_load_dword v0, off, s[40:43], 0  ; 4-byte Folded Reload
	buffer_load_dword v1, off, s[40:43], 0 offset:4 ; 4-byte Folded Reload
	buffer_load_dword v2, off, s[40:43], 0 offset:8 ; 4-byte Folded Reload
	;; [unrolled: 1-line block ×3, first 2 shown]
	s_waitcnt vmcnt(2)
	v_fma_f64 v[14:15], v[0:1], v[22:23], v[14:15]
	s_waitcnt vmcnt(0)
	v_fma_f64 v[16:17], v[2:3], v[22:23], v[16:17]
	buffer_load_dword v0, off, s[40:43], 0 offset:32 ; 4-byte Folded Reload
	buffer_load_dword v1, off, s[40:43], 0 offset:36 ; 4-byte Folded Reload
	;; [unrolled: 1-line block ×4, first 2 shown]
	v_fma_f64 v[14:15], v[52:53], v[24:25], v[14:15]
	v_fma_f64 v[16:17], v[54:55], v[24:25], v[16:17]
	s_waitcnt vmcnt(2)
	v_fma_f64 v[18:19], v[0:1], v[22:23], v[18:19]
	s_waitcnt vmcnt(0)
	v_fma_f64 v[20:21], v[2:3], v[22:23], v[20:21]
	v_mov_b32_e32 v0, v40
	v_mov_b32_e32 v1, v41
	;; [unrolled: 1-line block ×4, first 2 shown]
	v_fma_f64 v[6:7], v[0:1], v[24:25], v[6:7]
	v_fma_f64 v[8:9], v[2:3], v[24:25], v[8:9]
	buffer_load_dword v0, off, s[40:43], 0 offset:224 ; 4-byte Folded Reload
	buffer_load_dword v1, off, s[40:43], 0 offset:228 ; 4-byte Folded Reload
	;; [unrolled: 1-line block ×4, first 2 shown]
	s_waitcnt vmcnt(2)
	v_fma_f64 v[10:11], v[0:1], v[24:25], v[10:11]
	s_waitcnt vmcnt(0)
	v_fma_f64 v[12:13], v[2:3], v[24:25], v[12:13]
	buffer_load_dword v0, off, s[40:43], 0 offset:288 ; 4-byte Folded Reload
	buffer_load_dword v1, off, s[40:43], 0 offset:292 ; 4-byte Folded Reload
	;; [unrolled: 1-line block ×4, first 2 shown]
	s_waitcnt vmcnt(2)
	v_fma_f64 v[18:19], v[0:1], v[24:25], v[18:19]
	s_waitcnt vmcnt(0)
	v_fma_f64 v[20:21], v[2:3], v[24:25], v[20:21]
	buffer_load_dword v22, off, s[40:43], 0 offset:736 ; 4-byte Folded Reload
	buffer_load_dword v23, off, s[40:43], 0 offset:740 ; 4-byte Folded Reload
	;; [unrolled: 1-line block ×8, first 2 shown]
	s_waitcnt vmcnt(6)
	v_fma_f64 v[6:7], v[32:33], v[22:23], v[6:7]
	s_waitcnt vmcnt(2)
	v_fma_f64 v[10:11], v[0:1], v[22:23], v[10:11]
	v_fma_f64 v[8:9], v[34:35], v[22:23], v[8:9]
	s_waitcnt vmcnt(0)
	v_fma_f64 v[12:13], v[2:3], v[22:23], v[12:13]
	buffer_load_dword v0, off, s[40:43], 0 offset:16 ; 4-byte Folded Reload
	buffer_load_dword v1, off, s[40:43], 0 offset:20 ; 4-byte Folded Reload
	buffer_load_dword v2, off, s[40:43], 0 offset:24 ; 4-byte Folded Reload
	buffer_load_dword v3, off, s[40:43], 0 offset:28 ; 4-byte Folded Reload
	s_waitcnt vmcnt(2)
	v_fma_f64 v[14:15], v[0:1], v[22:23], v[14:15]
	s_waitcnt vmcnt(0)
	v_fma_f64 v[16:17], v[2:3], v[22:23], v[16:17]
	buffer_load_dword v0, off, s[40:43], 0 offset:160 ; 4-byte Folded Reload
	buffer_load_dword v1, off, s[40:43], 0 offset:164 ; 4-byte Folded Reload
	buffer_load_dword v2, off, s[40:43], 0 offset:168 ; 4-byte Folded Reload
	buffer_load_dword v3, off, s[40:43], 0 offset:172 ; 4-byte Folded Reload
	s_waitcnt vmcnt(2)
	;; [unrolled: 8-line block ×3, first 2 shown]
	v_fma_f64 v[4:5], v[0:1], v[24:25], v[6:7]
	buffer_store_dword v4, off, s[40:43], 0 offset:1512 ; 4-byte Folded Spill
	s_nop 0
	buffer_store_dword v5, off, s[40:43], 0 offset:1516 ; 4-byte Folded Spill
	s_waitcnt vmcnt(2)
	v_fma_f64 v[4:5], v[2:3], v[24:25], v[8:9]
	v_fma_f64 v[0:1], v[28:29], v[24:25], v[10:11]
	buffer_store_dword v4, off, s[40:43], 0 offset:1480 ; 4-byte Folded Spill
	s_nop 0
	buffer_store_dword v5, off, s[40:43], 0 offset:1484 ; 4-byte Folded Spill
	buffer_store_dword v0, off, s[40:43], 0 offset:1776 ; 4-byte Folded Spill
	s_nop 0
	buffer_store_dword v1, off, s[40:43], 0 offset:1780 ; 4-byte Folded Spill
	v_fma_f64 v[0:1], v[30:31], v[24:25], v[12:13]
	buffer_store_dword v0, off, s[40:43], 0 offset:1728 ; 4-byte Folded Spill
	s_nop 0
	buffer_store_dword v1, off, s[40:43], 0 offset:1732 ; 4-byte Folded Spill
	buffer_load_dword v0, off, s[40:43], 0 offset:304 ; 4-byte Folded Reload
	s_nop 0
	buffer_load_dword v1, off, s[40:43], 0 offset:308 ; 4-byte Folded Reload
	buffer_load_dword v2, off, s[40:43], 0 offset:312 ; 4-byte Folded Reload
	;; [unrolled: 1-line block ×3, first 2 shown]
	s_waitcnt vmcnt(2)
	v_fma_f64 v[0:1], v[0:1], v[24:25], v[14:15]
	buffer_store_dword v0, off, s[40:43], 0 offset:1680 ; 4-byte Folded Spill
	s_nop 0
	buffer_store_dword v1, off, s[40:43], 0 offset:1684 ; 4-byte Folded Spill
	s_waitcnt vmcnt(2)
	v_fma_f64 v[0:1], v[2:3], v[24:25], v[16:17]
	buffer_store_dword v0, off, s[40:43], 0 offset:1632 ; 4-byte Folded Spill
	s_nop 0
	buffer_store_dword v1, off, s[40:43], 0 offset:1636 ; 4-byte Folded Spill
	buffer_load_dword v0, off, s[40:43], 0 offset:256 ; 4-byte Folded Reload
	s_nop 0
	buffer_load_dword v1, off, s[40:43], 0 offset:260 ; 4-byte Folded Reload
	buffer_load_dword v2, off, s[40:43], 0 offset:264 ; 4-byte Folded Reload
	;; [unrolled: 1-line block ×3, first 2 shown]
	s_waitcnt vmcnt(2)
	v_fma_f64 v[0:1], v[0:1], v[24:25], v[18:19]
	buffer_store_dword v0, off, s[40:43], 0 offset:1584 ; 4-byte Folded Spill
	s_nop 0
	buffer_store_dword v1, off, s[40:43], 0 offset:1588 ; 4-byte Folded Spill
	s_waitcnt vmcnt(2)
	v_fma_f64 v[26:27], v[2:3], v[24:25], v[20:21]
	buffer_load_dword v28, off, s[40:43], 0 offset:608 ; 4-byte Folded Reload
	buffer_load_dword v29, off, s[40:43], 0 offset:612 ; 4-byte Folded Reload
	;; [unrolled: 1-line block ×8, first 2 shown]
	s_waitcnt vmcnt(2)
	v_fma_f64 v[8:9], v[0:1], v[28:29], 0
	s_waitcnt vmcnt(0)
	v_fma_f64 v[10:11], v[2:3], v[28:29], 0
	buffer_load_dword v2, off, s[40:43], 0 offset:416 ; 4-byte Folded Reload
	buffer_load_dword v3, off, s[40:43], 0 offset:420 ; 4-byte Folded Reload
	;; [unrolled: 1-line block ×4, first 2 shown]
	v_fma_f64 v[8:9], v[44:45], v[30:31], v[8:9]
	v_fma_f64 v[10:11], v[46:47], v[30:31], v[10:11]
	s_waitcnt vmcnt(2)
	v_fma_f64 v[12:13], v[2:3], v[28:29], 0
	buffer_load_dword v0, off, s[40:43], 0 offset:176 ; 4-byte Folded Reload
	buffer_load_dword v1, off, s[40:43], 0 offset:180 ; 4-byte Folded Reload
	;; [unrolled: 1-line block ×4, first 2 shown]
	s_waitcnt vmcnt(4)
	v_fma_f64 v[14:15], v[4:5], v[28:29], 0
	s_waitcnt vmcnt(2)
	v_fma_f64 v[12:13], v[0:1], v[30:31], v[12:13]
	s_waitcnt vmcnt(0)
	v_mov_b32_e32 v43, v3
	v_fma_f64 v[14:15], v[2:3], v[30:31], v[14:15]
	v_mov_b32_e32 v42, v2
	v_mov_b32_e32 v41, v1
	;; [unrolled: 1-line block ×3, first 2 shown]
	buffer_load_dword v0, off, s[40:43], 0 offset:480 ; 4-byte Folded Reload
	buffer_load_dword v1, off, s[40:43], 0 offset:484 ; 4-byte Folded Reload
	;; [unrolled: 1-line block ×8, first 2 shown]
	s_waitcnt vmcnt(6)
	v_fma_f64 v[16:17], v[0:1], v[28:29], 0
	s_waitcnt vmcnt(4)
	v_fma_f64 v[18:19], v[2:3], v[28:29], 0
	buffer_load_dword v0, off, s[40:43], 0 offset:464 ; 4-byte Folded Reload
	buffer_load_dword v1, off, s[40:43], 0 offset:468 ; 4-byte Folded Reload
	;; [unrolled: 1-line block ×4, first 2 shown]
	s_waitcnt vmcnt(6)
	v_fma_f64 v[16:17], v[4:5], v[30:31], v[16:17]
	s_waitcnt vmcnt(4)
	v_fma_f64 v[18:19], v[6:7], v[30:31], v[18:19]
	;; [unrolled: 2-line block ×4, first 2 shown]
	v_fma_f64 v[20:21], v[48:49], v[30:31], v[20:21]
	v_fma_f64 v[24:25], v[50:51], v[30:31], v[24:25]
	buffer_load_dword v28, off, s[40:43], 0 offset:864 ; 4-byte Folded Reload
	buffer_load_dword v29, off, s[40:43], 0 offset:868 ; 4-byte Folded Reload
	;; [unrolled: 1-line block ×8, first 2 shown]
	s_waitcnt vmcnt(6)
	v_fma_f64 v[16:17], v[60:61], v[28:29], v[16:17]
	v_fma_f64 v[18:19], v[62:63], v[28:29], v[18:19]
	;; [unrolled: 1-line block ×4, first 2 shown]
	s_waitcnt vmcnt(2)
	v_fma_f64 v[8:9], v[0:1], v[28:29], v[8:9]
	s_waitcnt vmcnt(0)
	v_fma_f64 v[10:11], v[2:3], v[28:29], v[10:11]
	buffer_load_dword v0, off, s[40:43], 0 offset:80 ; 4-byte Folded Reload
	buffer_load_dword v1, off, s[40:43], 0 offset:84 ; 4-byte Folded Reload
	buffer_load_dword v2, off, s[40:43], 0 offset:88 ; 4-byte Folded Reload
	buffer_load_dword v3, off, s[40:43], 0 offset:92 ; 4-byte Folded Reload
	s_waitcnt vmcnt(2)
	v_fma_f64 v[12:13], v[0:1], v[28:29], v[12:13]
	s_waitcnt vmcnt(0)
	v_fma_f64 v[14:15], v[2:3], v[28:29], v[14:15]
	buffer_load_dword v0, off, s[40:43], 0 offset:208 ; 4-byte Folded Reload
	buffer_load_dword v1, off, s[40:43], 0 offset:212 ; 4-byte Folded Reload
	buffer_load_dword v2, off, s[40:43], 0 offset:216 ; 4-byte Folded Reload
	buffer_load_dword v3, off, s[40:43], 0 offset:220 ; 4-byte Folded Reload
	;; [unrolled: 8-line block ×6, first 2 shown]
	buffer_load_dword v0, off, s[40:43], 0 offset:336 ; 4-byte Folded Reload
	buffer_load_dword v1, off, s[40:43], 0 offset:340 ; 4-byte Folded Reload
	buffer_load_dword v2, off, s[40:43], 0 offset:344 ; 4-byte Folded Reload
	buffer_load_dword v3, off, s[40:43], 0 offset:348 ; 4-byte Folded Reload
	s_waitcnt vmcnt(2)
	v_fma_f64 v[8:9], v[0:1], v[28:29], v[8:9]
	s_waitcnt vmcnt(0)
	v_fma_f64 v[10:11], v[2:3], v[28:29], v[10:11]
	buffer_load_dword v0, off, s[40:43], 0 offset:144 ; 4-byte Folded Reload
	buffer_load_dword v1, off, s[40:43], 0 offset:148 ; 4-byte Folded Reload
	;; [unrolled: 1-line block ×4, first 2 shown]
	s_waitcnt vmcnt(2)
	v_fma_f64 v[12:13], v[0:1], v[28:29], v[12:13]
	s_waitcnt vmcnt(0)
	v_fma_f64 v[14:15], v[2:3], v[28:29], v[14:15]
	buffer_load_dword v0, off, s[40:43], 0  ; 4-byte Folded Reload
	buffer_load_dword v1, off, s[40:43], 0 offset:4 ; 4-byte Folded Reload
	buffer_load_dword v2, off, s[40:43], 0 offset:8 ; 4-byte Folded Reload
	;; [unrolled: 1-line block ×3, first 2 shown]
	s_waitcnt vmcnt(2)
	v_fma_f64 v[16:17], v[0:1], v[28:29], v[16:17]
	s_waitcnt vmcnt(0)
	v_fma_f64 v[18:19], v[2:3], v[28:29], v[18:19]
	buffer_load_dword v0, off, s[40:43], 0 offset:32 ; 4-byte Folded Reload
	buffer_load_dword v1, off, s[40:43], 0 offset:36 ; 4-byte Folded Reload
	;; [unrolled: 1-line block ×4, first 2 shown]
	v_fma_f64 v[16:17], v[52:53], v[30:31], v[16:17]
	v_fma_f64 v[18:19], v[54:55], v[30:31], v[18:19]
	s_waitcnt vmcnt(2)
	v_fma_f64 v[20:21], v[0:1], v[28:29], v[20:21]
	s_waitcnt vmcnt(0)
	v_fma_f64 v[24:25], v[2:3], v[28:29], v[24:25]
	buffer_load_dword v0, off, s[40:43], 0 offset:384 ; 4-byte Folded Reload
	buffer_load_dword v1, off, s[40:43], 0 offset:388 ; 4-byte Folded Reload
	;; [unrolled: 1-line block ×4, first 2 shown]
	s_waitcnt vmcnt(2)
	v_fma_f64 v[8:9], v[0:1], v[30:31], v[8:9]
	s_waitcnt vmcnt(0)
	v_mov_b32_e32 v59, v3
	v_fma_f64 v[10:11], v[2:3], v[30:31], v[10:11]
	v_mov_b32_e32 v58, v2
	v_mov_b32_e32 v57, v1
	;; [unrolled: 1-line block ×3, first 2 shown]
	buffer_load_dword v0, off, s[40:43], 0 offset:224 ; 4-byte Folded Reload
	buffer_load_dword v1, off, s[40:43], 0 offset:228 ; 4-byte Folded Reload
	;; [unrolled: 1-line block ×4, first 2 shown]
	s_waitcnt vmcnt(2)
	v_fma_f64 v[12:13], v[0:1], v[30:31], v[12:13]
	s_waitcnt vmcnt(0)
	v_fma_f64 v[14:15], v[2:3], v[30:31], v[14:15]
	buffer_load_dword v0, off, s[40:43], 0 offset:288 ; 4-byte Folded Reload
	buffer_load_dword v1, off, s[40:43], 0 offset:292 ; 4-byte Folded Reload
	;; [unrolled: 1-line block ×4, first 2 shown]
	s_waitcnt vmcnt(2)
	v_fma_f64 v[20:21], v[0:1], v[30:31], v[20:21]
	s_waitcnt vmcnt(0)
	v_fma_f64 v[24:25], v[2:3], v[30:31], v[24:25]
	buffer_load_dword v30, off, s[40:43], 0 offset:832 ; 4-byte Folded Reload
	buffer_load_dword v31, off, s[40:43], 0 offset:836 ; 4-byte Folded Reload
	;; [unrolled: 1-line block ×8, first 2 shown]
	s_waitcnt vmcnt(2)
	v_fma_f64 v[8:9], v[0:1], v[30:31], v[8:9]
	s_waitcnt vmcnt(0)
	v_fma_f64 v[10:11], v[2:3], v[30:31], v[10:11]
	buffer_load_dword v0, off, s[40:43], 0 offset:48 ; 4-byte Folded Reload
	buffer_load_dword v1, off, s[40:43], 0 offset:52 ; 4-byte Folded Reload
	buffer_load_dword v2, off, s[40:43], 0 offset:56 ; 4-byte Folded Reload
	buffer_load_dword v3, off, s[40:43], 0 offset:60 ; 4-byte Folded Reload
	s_waitcnt vmcnt(2)
	v_fma_f64 v[12:13], v[0:1], v[30:31], v[12:13]
	s_waitcnt vmcnt(0)
	v_fma_f64 v[14:15], v[2:3], v[30:31], v[14:15]
	buffer_load_dword v0, off, s[40:43], 0 offset:16 ; 4-byte Folded Reload
	buffer_load_dword v1, off, s[40:43], 0 offset:20 ; 4-byte Folded Reload
	buffer_load_dword v2, off, s[40:43], 0 offset:24 ; 4-byte Folded Reload
	buffer_load_dword v3, off, s[40:43], 0 offset:28 ; 4-byte Folded Reload
	;; [unrolled: 8-line block ×4, first 2 shown]
	s_waitcnt vmcnt(2)
	v_fma_f64 v[0:1], v[0:1], v[32:33], v[8:9]
	buffer_store_dword v0, off, s[40:43], 0 offset:1840 ; 4-byte Folded Spill
	s_nop 0
	buffer_store_dword v1, off, s[40:43], 0 offset:1844 ; 4-byte Folded Spill
	s_waitcnt vmcnt(2)
	v_fma_f64 v[0:1], v[2:3], v[32:33], v[10:11]
	buffer_store_dword v0, off, s[40:43], 0 offset:1824 ; 4-byte Folded Spill
	s_nop 0
	buffer_store_dword v1, off, s[40:43], 0 offset:1828 ; 4-byte Folded Spill
	buffer_load_dword v0, off, s[40:43], 0 offset:368 ; 4-byte Folded Reload
	s_nop 0
	buffer_load_dword v1, off, s[40:43], 0 offset:372 ; 4-byte Folded Reload
	buffer_load_dword v2, off, s[40:43], 0 offset:376 ; 4-byte Folded Reload
	buffer_load_dword v3, off, s[40:43], 0 offset:380 ; 4-byte Folded Reload
	s_waitcnt vmcnt(2)
	v_fma_f64 v[0:1], v[0:1], v[32:33], v[12:13]
	buffer_store_dword v0, off, s[40:43], 0 offset:1792 ; 4-byte Folded Spill
	s_nop 0
	buffer_store_dword v1, off, s[40:43], 0 offset:1796 ; 4-byte Folded Spill
	s_waitcnt vmcnt(2)
	v_fma_f64 v[0:1], v[2:3], v[32:33], v[14:15]
	buffer_store_dword v0, off, s[40:43], 0 offset:1744 ; 4-byte Folded Spill
	s_nop 0
	buffer_store_dword v1, off, s[40:43], 0 offset:1748 ; 4-byte Folded Spill
	buffer_load_dword v0, off, s[40:43], 0 offset:304 ; 4-byte Folded Reload
	s_nop 0
	buffer_load_dword v1, off, s[40:43], 0 offset:308 ; 4-byte Folded Reload
	buffer_load_dword v2, off, s[40:43], 0 offset:312 ; 4-byte Folded Reload
	buffer_load_dword v3, off, s[40:43], 0 offset:316 ; 4-byte Folded Reload
	s_waitcnt vmcnt(2)
	v_fma_f64 v[0:1], v[0:1], v[32:33], v[16:17]
	buffer_store_dword v0, off, s[40:43], 0 offset:1696 ; 4-byte Folded Spill
	s_nop 0
	buffer_store_dword v1, off, s[40:43], 0 offset:1700 ; 4-byte Folded Spill
	s_waitcnt vmcnt(2)
	v_fma_f64 v[0:1], v[2:3], v[32:33], v[28:29]
	buffer_store_dword v0, off, s[40:43], 0 offset:1648 ; 4-byte Folded Spill
	s_nop 0
	buffer_store_dword v1, off, s[40:43], 0 offset:1652 ; 4-byte Folded Spill
	buffer_load_dword v0, off, s[40:43], 0 offset:256 ; 4-byte Folded Reload
	s_nop 0
	buffer_load_dword v1, off, s[40:43], 0 offset:260 ; 4-byte Folded Reload
	buffer_load_dword v2, off, s[40:43], 0 offset:264 ; 4-byte Folded Reload
	buffer_load_dword v3, off, s[40:43], 0 offset:268 ; 4-byte Folded Reload
	s_waitcnt vmcnt(2)
	v_fma_f64 v[4:5], v[0:1], v[32:33], v[20:21]
	buffer_store_dword v4, off, s[40:43], 0 offset:1600 ; 4-byte Folded Spill
	s_nop 0
	buffer_store_dword v5, off, s[40:43], 0 offset:1604 ; 4-byte Folded Spill
	s_waitcnt vmcnt(2)
	v_fma_f64 v[4:5], v[2:3], v[32:33], v[24:25]
	buffer_store_dword v4, off, s[40:43], 0 offset:1520 ; 4-byte Folded Spill
	s_nop 0
	buffer_store_dword v5, off, s[40:43], 0 offset:1524 ; 4-byte Folded Spill
	buffer_load_dword v28, off, s[40:43], 0 offset:816 ; 4-byte Folded Reload
	buffer_load_dword v29, off, s[40:43], 0 offset:820 ; 4-byte Folded Reload
	;; [unrolled: 1-line block ×8, first 2 shown]
	s_waitcnt vmcnt(2)
	v_fma_f64 v[8:9], v[0:1], v[28:29], 0
	s_waitcnt vmcnt(0)
	v_fma_f64 v[10:11], v[2:3], v[28:29], 0
	buffer_load_dword v0, off, s[40:43], 0 offset:416 ; 4-byte Folded Reload
	buffer_load_dword v1, off, s[40:43], 0 offset:420 ; 4-byte Folded Reload
	buffer_load_dword v2, off, s[40:43], 0 offset:424 ; 4-byte Folded Reload
	buffer_load_dword v3, off, s[40:43], 0 offset:428 ; 4-byte Folded Reload
	v_fma_f64 v[34:35], v[44:45], v[30:31], v[8:9]
	v_fma_f64 v[18:19], v[46:47], v[30:31], v[10:11]
	buffer_load_dword v4, off, s[40:43], 0 offset:96 ; 4-byte Folded Reload
	buffer_load_dword v5, off, s[40:43], 0 offset:100 ; 4-byte Folded Reload
	;; [unrolled: 1-line block ×12, first 2 shown]
	s_waitcnt vmcnt(14)
	v_fma_f64 v[12:13], v[0:1], v[28:29], 0
	s_waitcnt vmcnt(12)
	v_fma_f64 v[14:15], v[2:3], v[28:29], 0
	buffer_load_dword v0, off, s[40:43], 0 offset:240 ; 4-byte Folded Reload
	buffer_load_dword v1, off, s[40:43], 0 offset:244 ; 4-byte Folded Reload
	;; [unrolled: 1-line block ×4, first 2 shown]
	v_fma_f64 v[12:13], v[40:41], v[30:31], v[12:13]
	s_waitcnt vmcnt(6)
	v_fma_f64 v[16:17], v[8:9], v[28:29], 0
	v_fma_f64 v[14:15], v[42:43], v[30:31], v[14:15]
	s_waitcnt vmcnt(4)
	v_fma_f64 v[20:21], v[10:11], v[28:29], 0
	buffer_load_dword v40, off, s[40:43], 0 offset:112 ; 4-byte Folded Reload
	buffer_load_dword v41, off, s[40:43], 0 offset:116 ; 4-byte Folded Reload
	;; [unrolled: 1-line block ×4, first 2 shown]
	s_waitcnt vmcnt(6)
	v_fma_f64 v[16:17], v[0:1], v[30:31], v[16:17]
	s_waitcnt vmcnt(4)
	v_fma_f64 v[20:21], v[2:3], v[30:31], v[20:21]
	buffer_load_dword v0, off, s[40:43], 0 offset:464 ; 4-byte Folded Reload
	buffer_load_dword v1, off, s[40:43], 0 offset:468 ; 4-byte Folded Reload
	;; [unrolled: 1-line block ×4, first 2 shown]
	s_waitcnt vmcnt(2)
	v_fma_f64 v[24:25], v[0:1], v[28:29], 0
	s_waitcnt vmcnt(0)
	v_fma_f64 v[28:29], v[2:3], v[28:29], 0
	buffer_load_dword v0, off, s[40:43], 0 offset:208 ; 4-byte Folded Reload
	buffer_load_dword v1, off, s[40:43], 0 offset:212 ; 4-byte Folded Reload
	buffer_load_dword v2, off, s[40:43], 0 offset:216 ; 4-byte Folded Reload
	buffer_load_dword v3, off, s[40:43], 0 offset:220 ; 4-byte Folded Reload
	buffer_load_dword v8, off, s[40:43], 0  ; 4-byte Folded Reload
	buffer_load_dword v9, off, s[40:43], 0 offset:4 ; 4-byte Folded Reload
	buffer_load_dword v10, off, s[40:43], 0 offset:8 ; 4-byte Folded Reload
	;; [unrolled: 1-line block ×3, first 2 shown]
	v_fma_f64 v[24:25], v[48:49], v[30:31], v[24:25]
	v_fma_f64 v[28:29], v[50:51], v[30:31], v[28:29]
	buffer_load_dword v30, off, s[40:43], 0 offset:800 ; 4-byte Folded Reload
	buffer_load_dword v31, off, s[40:43], 0 offset:804 ; 4-byte Folded Reload
	;; [unrolled: 1-line block ×4, first 2 shown]
	s_waitcnt vmcnt(2)
	v_fma_f64 v[22:23], v[4:5], v[30:31], v[34:35]
	v_fma_f64 v[18:19], v[6:7], v[30:31], v[18:19]
	v_fma_f64 v[16:17], v[60:61], v[30:31], v[16:17]
	buffer_load_dword v60, off, s[40:43], 0 offset:1512 ; 4-byte Folded Reload
	buffer_load_dword v61, off, s[40:43], 0 offset:1516 ; 4-byte Folded Reload
	v_fma_f64 v[20:21], v[62:63], v[30:31], v[20:21]
	buffer_load_dword v62, off, s[40:43], 0 offset:1480 ; 4-byte Folded Reload
	buffer_load_dword v63, off, s[40:43], 0 offset:1484 ; 4-byte Folded Reload
	v_fma_f64 v[14:15], v[46:47], v[30:31], v[14:15]
	v_fma_f64 v[12:13], v[44:45], v[30:31], v[12:13]
	s_waitcnt vmcnt(4)
	v_fma_f64 v[22:23], v[0:1], v[32:33], v[22:23]
	v_fma_f64 v[18:19], v[2:3], v[32:33], v[18:19]
	buffer_load_dword v0, off, s[40:43], 0 offset:128 ; 4-byte Folded Reload
	buffer_load_dword v1, off, s[40:43], 0 offset:132 ; 4-byte Folded Reload
	buffer_load_dword v2, off, s[40:43], 0 offset:136 ; 4-byte Folded Reload
	buffer_load_dword v3, off, s[40:43], 0 offset:140 ; 4-byte Folded Reload
	v_fma_f64 v[24:25], v[36:37], v[30:31], v[24:25]
	v_fma_f64 v[28:29], v[38:39], v[30:31], v[28:29]
	;; [unrolled: 1-line block ×4, first 2 shown]
	s_waitcnt vmcnt(2)
	v_fma_f64 v[12:13], v[0:1], v[32:33], v[12:13]
	v_mov_b32_e32 v0, v26
	s_waitcnt vmcnt(0)
	v_fma_f64 v[14:15], v[2:3], v[32:33], v[14:15]
	buffer_load_dword v2, off, s[40:43], 0 offset:1424 ; 4-byte Folded Reload
	buffer_load_dword v3, off, s[40:43], 0 offset:1428 ; 4-byte Folded Reload
	;; [unrolled: 1-line block ×10, first 2 shown]
	v_mov_b32_e32 v1, v27
	s_waitcnt vmcnt(6)
	v_fma_f64 v[16:17], v[4:5], v[32:33], v[16:17]
	s_waitcnt vmcnt(4)
	v_fma_f64 v[20:21], v[6:7], v[32:33], v[20:21]
	buffer_load_dword v42, off, s[40:43], 0 offset:1504 ; 4-byte Folded Reload
	buffer_load_dword v43, off, s[40:43], 0 offset:1508 ; 4-byte Folded Reload
	;; [unrolled: 1-line block ×12, first 2 shown]
	s_waitcnt vmcnt(8)
	v_fma_f64 v[16:17], v[8:9], v[4:5], v[16:17]
	v_fma_f64 v[20:21], v[10:11], v[4:5], v[20:21]
	s_waitcnt vmcnt(4)
	v_fma_f64 v[22:23], v[30:31], v[4:5], v[22:23]
	s_waitcnt vmcnt(2)
	v_fma_f64 v[18:19], v[32:33], v[4:5], v[18:19]
	buffer_load_dword v30, off, s[40:43], 0 offset:288 ; 4-byte Folded Reload
	buffer_load_dword v31, off, s[40:43], 0 offset:292 ; 4-byte Folded Reload
	buffer_load_dword v32, off, s[40:43], 0 offset:296 ; 4-byte Folded Reload
	buffer_load_dword v33, off, s[40:43], 0 offset:300 ; 4-byte Folded Reload
	buffer_load_dword v34, off, s[40:43], 0 offset:144 ; 4-byte Folded Reload
	buffer_load_dword v35, off, s[40:43], 0 offset:148 ; 4-byte Folded Reload
	buffer_load_dword v36, off, s[40:43], 0 offset:152 ; 4-byte Folded Reload
	buffer_load_dword v37, off, s[40:43], 0 offset:156 ; 4-byte Folded Reload
	buffer_load_dword v8, off, s[40:43], 0 offset:32 ; 4-byte Folded Reload
	buffer_load_dword v9, off, s[40:43], 0 offset:36 ; 4-byte Folded Reload
	buffer_load_dword v10, off, s[40:43], 0 offset:40 ; 4-byte Folded Reload
	buffer_load_dword v11, off, s[40:43], 0 offset:44 ; 4-byte Folded Reload
	v_fma_f64 v[16:17], v[52:53], v[6:7], v[16:17]
	v_fma_f64 v[20:21], v[54:55], v[6:7], v[20:21]
	s_waitcnt vmcnt(6)
	v_fma_f64 v[12:13], v[34:35], v[4:5], v[12:13]
	s_waitcnt vmcnt(2)
	v_fma_f64 v[24:25], v[8:9], v[4:5], v[24:25]
	v_fma_f64 v[14:15], v[36:37], v[4:5], v[14:15]
	;; [unrolled: 1-line block ×3, first 2 shown]
	buffer_load_dword v56, off, s[40:43], 0 offset:1472 ; 4-byte Folded Reload
	buffer_load_dword v57, off, s[40:43], 0 offset:1476 ; 4-byte Folded Reload
	;; [unrolled: 1-line block ×8, first 2 shown]
	s_waitcnt vmcnt(8)
	v_fma_f64 v[28:29], v[10:11], v[4:5], v[28:29]
	v_fma_f64 v[10:11], v[58:59], v[6:7], v[18:19]
	buffer_load_dword v52, off, s[40:43], 0 offset:1496 ; 4-byte Folded Reload
	buffer_load_dword v53, off, s[40:43], 0 offset:1500 ; 4-byte Folded Reload
	;; [unrolled: 1-line block ×4, first 2 shown]
	v_fma_f64 v[24:25], v[30:31], v[6:7], v[24:25]
	v_fma_f64 v[28:29], v[32:33], v[6:7], v[28:29]
	s_waitcnt vmcnt(6)
	v_fma_f64 v[12:13], v[44:45], v[6:7], v[12:13]
	s_waitcnt vmcnt(4)
	v_fma_f64 v[14:15], v[46:47], v[6:7], v[14:15]
	buffer_load_dword v4, off, s[40:43], 0 offset:992 ; 4-byte Folded Reload
	buffer_load_dword v5, off, s[40:43], 0 offset:996 ; 4-byte Folded Reload
	;; [unrolled: 1-line block ×8, first 2 shown]
	s_waitcnt vmcnt(2)
	v_fma_f64 v[8:9], v[30:31], v[4:5], v[8:9]
	s_waitcnt vmcnt(0)
	v_fma_f64 v[10:11], v[32:33], v[4:5], v[10:11]
	buffer_load_dword v30, off, s[40:43], 0 offset:48 ; 4-byte Folded Reload
	buffer_load_dword v31, off, s[40:43], 0 offset:52 ; 4-byte Folded Reload
	buffer_load_dword v32, off, s[40:43], 0 offset:56 ; 4-byte Folded Reload
	buffer_load_dword v33, off, s[40:43], 0 offset:60 ; 4-byte Folded Reload
	s_waitcnt vmcnt(2)
	v_fma_f64 v[12:13], v[30:31], v[4:5], v[12:13]
	s_waitcnt vmcnt(0)
	v_fma_f64 v[14:15], v[32:33], v[4:5], v[14:15]
	buffer_load_dword v30, off, s[40:43], 0 offset:16 ; 4-byte Folded Reload
	buffer_load_dword v31, off, s[40:43], 0 offset:20 ; 4-byte Folded Reload
	buffer_load_dword v32, off, s[40:43], 0 offset:24 ; 4-byte Folded Reload
	buffer_load_dword v33, off, s[40:43], 0 offset:28 ; 4-byte Folded Reload
	;; [unrolled: 8-line block ×4, first 2 shown]
	buffer_load_dword v20, off, s[40:43], 0 offset:200 ; 4-byte Folded Reload
	buffer_load_dword v21, off, s[40:43], 0 offset:204 ; 4-byte Folded Reload
	s_waitcnt vmcnt(2)
	v_fma_f64 v[22:23], v[18:19], v[6:7], v[8:9]
	s_waitcnt vmcnt(0)
	v_fma_f64 v[46:47], v[20:21], v[6:7], v[10:11]
	buffer_load_dword v8, off, s[40:43], 0 offset:368 ; 4-byte Folded Reload
	buffer_load_dword v9, off, s[40:43], 0 offset:372 ; 4-byte Folded Reload
	;; [unrolled: 1-line block ×4, first 2 shown]
	s_waitcnt vmcnt(2)
	v_fma_f64 v[26:27], v[8:9], v[6:7], v[12:13]
	s_waitcnt vmcnt(0)
	v_fma_f64 v[44:45], v[10:11], v[6:7], v[14:15]
	buffer_load_dword v8, off, s[40:43], 0 offset:304 ; 4-byte Folded Reload
	buffer_load_dword v9, off, s[40:43], 0 offset:308 ; 4-byte Folded Reload
	;; [unrolled: 1-line block ×4, first 2 shown]
	v_mov_b32_e32 v15, v5
	v_mov_b32_e32 v14, v4
	s_waitcnt vmcnt(2)
	v_fma_f64 v[58:59], v[8:9], v[6:7], v[16:17]
	v_mov_b32_e32 v16, v34
	s_waitcnt vmcnt(0)
	v_fma_f64 v[54:55], v[10:11], v[6:7], v[30:31]
	buffer_load_dword v8, off, s[40:43], 0 offset:256 ; 4-byte Folded Reload
	buffer_load_dword v9, off, s[40:43], 0 offset:260 ; 4-byte Folded Reload
	;; [unrolled: 1-line block ×4, first 2 shown]
	v_mov_b32_e32 v30, v38
	v_mov_b32_e32 v17, v35
	;; [unrolled: 1-line block ×3, first 2 shown]
	s_waitcnt vmcnt(2)
	v_fma_f64 v[50:51], v[8:9], v[6:7], v[24:25]
	v_mov_b32_e32 v8, v36
	s_waitcnt vmcnt(0)
	v_fma_f64 v[6:7], v[10:11], v[6:7], v[28:29]
	buffer_load_dword v10, off, s[40:43], 0 offset:1488 ; 4-byte Folded Reload
	buffer_load_dword v11, off, s[40:43], 0 offset:1492 ; 4-byte Folded Reload
	;; [unrolled: 1-line block ×4, first 2 shown]
	v_mov_b32_e32 v24, v48
	v_mov_b32_e32 v29, v3
	;; [unrolled: 1-line block ×5, first 2 shown]
	s_cbranch_vccnz .LBB0_33
; %bb.32:                               ;   in Loop: Header=BB0_21 Depth=1
	buffer_load_dword v20, off, s[40:43], 0 offset:1352 ; 4-byte Folded Reload
	buffer_load_dword v21, off, s[40:43], 0 offset:1356 ; 4-byte Folded Reload
	s_waitcnt vmcnt(4)
	v_mov_b32_e32 v19, v11
	v_mov_b32_e32 v18, v10
	s_waitcnt vmcnt(2)
	v_mov_b32_e32 v33, v13
	v_mov_b32_e32 v32, v12
	s_waitcnt vmcnt(0)
	v_fma_f64 v[8:9], v[18:19], v[20:21], 0
	buffer_load_dword v18, off, s[40:43], 0 offset:1344 ; 4-byte Folded Reload
	buffer_load_dword v19, off, s[40:43], 0 offset:1348 ; 4-byte Folded Reload
	;; [unrolled: 1-line block ×16, first 2 shown]
	s_waitcnt vmcnt(12)
	v_fma_f64 v[8:9], v[10:11], v[18:19], v[8:9]
	v_fma_f64 v[10:11], v[20:21], v[32:33], 0
	s_waitcnt vmcnt(10)
	v_fma_f64 v[10:11], v[18:19], v[12:13], v[10:11]
	v_fma_f64 v[12:13], v[20:21], v[4:5], 0
	;; [unrolled: 3-line block ×7, first 2 shown]
	buffer_load_dword v20, off, s[40:43], 0 offset:1544 ; 4-byte Folded Reload
	buffer_load_dword v21, off, s[40:43], 0 offset:1548 ; 4-byte Folded Reload
	s_waitcnt vmcnt(0)
	v_fma_f64 v[30:31], v[18:19], v[20:21], v[30:31]
	buffer_load_dword v18, off, s[40:43], 0 offset:1368 ; 4-byte Folded Reload
	buffer_load_dword v19, off, s[40:43], 0 offset:1372 ; 4-byte Folded Reload
	;; [unrolled: 1-line block ×4, first 2 shown]
	s_waitcnt vmcnt(0)
	v_fma_f64 v[8:9], v[2:3], v[18:19], v[8:9]
	buffer_load_dword v2, off, s[40:43], 0 offset:1800 ; 4-byte Folded Reload
	buffer_load_dword v3, off, s[40:43], 0 offset:1804 ; 4-byte Folded Reload
	;; [unrolled: 1-line block ×4, first 2 shown]
	s_waitcnt vmcnt(2)
	v_fma_f64 v[10:11], v[18:19], v[2:3], v[10:11]
	s_waitcnt vmcnt(0)
	v_fma_f64 v[12:13], v[18:19], v[20:21], v[12:13]
	buffer_load_dword v20, off, s[40:43], 0 offset:1704 ; 4-byte Folded Reload
	buffer_load_dword v21, off, s[40:43], 0 offset:1708 ; 4-byte Folded Reload
	s_waitcnt vmcnt(0)
	v_fma_f64 v[14:15], v[18:19], v[20:21], v[14:15]
	buffer_load_dword v20, off, s[40:43], 0 offset:1656 ; 4-byte Folded Reload
	buffer_load_dword v21, off, s[40:43], 0 offset:1660 ; 4-byte Folded Reload
	;; [unrolled: 4-line block ×6, first 2 shown]
	buffer_load_dword v20, off, s[40:43], 0 offset:1760 ; 4-byte Folded Reload
	buffer_load_dword v21, off, s[40:43], 0 offset:1764 ; 4-byte Folded Reload
	s_waitcnt vmcnt(2)
	v_fma_f64 v[10:11], v[18:19], v[56:57], v[10:11]
	s_waitcnt vmcnt(0)
	v_fma_f64 v[12:13], v[18:19], v[20:21], v[12:13]
	buffer_load_dword v20, off, s[40:43], 0 offset:1712 ; 4-byte Folded Reload
	buffer_load_dword v21, off, s[40:43], 0 offset:1716 ; 4-byte Folded Reload
	v_fma_f64 v[8:9], v[52:53], v[18:19], v[8:9]
	s_waitcnt vmcnt(0)
	v_fma_f64 v[14:15], v[18:19], v[20:21], v[14:15]
	buffer_load_dword v20, off, s[40:43], 0 offset:1664 ; 4-byte Folded Reload
	buffer_load_dword v21, off, s[40:43], 0 offset:1668 ; 4-byte Folded Reload
	s_waitcnt vmcnt(0)
	v_fma_f64 v[16:17], v[18:19], v[20:21], v[16:17]
	buffer_load_dword v20, off, s[40:43], 0 offset:1616 ; 4-byte Folded Reload
	buffer_load_dword v21, off, s[40:43], 0 offset:1620 ; 4-byte Folded Reload
	;; [unrolled: 4-line block ×4, first 2 shown]
	buffer_load_dword v4, off, s[40:43], 0 offset:1384 ; 4-byte Folded Reload
	buffer_load_dword v5, off, s[40:43], 0 offset:1388 ; 4-byte Folded Reload
	;; [unrolled: 1-line block ×4, first 2 shown]
	s_waitcnt vmcnt(4)
	v_fma_f64 v[30:31], v[18:19], v[20:21], v[30:31]
	s_waitcnt vmcnt(2)
	v_fma_f64 v[8:9], v[42:43], v[4:5], v[8:9]
	;; [unrolled: 2-line block ×3, first 2 shown]
	buffer_load_dword v2, off, s[40:43], 0 offset:1768 ; 4-byte Folded Reload
	buffer_load_dword v3, off, s[40:43], 0 offset:1772 ; 4-byte Folded Reload
	v_fma_f64 v[30:31], v[4:5], v[40:41], v[30:31]
	s_waitcnt vmcnt(0)
	v_fma_f64 v[12:13], v[4:5], v[2:3], v[12:13]
	buffer_load_dword v2, off, s[40:43], 0 offset:1720 ; 4-byte Folded Reload
	buffer_load_dword v3, off, s[40:43], 0 offset:1724 ; 4-byte Folded Reload
	s_waitcnt vmcnt(0)
	v_fma_f64 v[14:15], v[4:5], v[2:3], v[14:15]
	buffer_load_dword v2, off, s[40:43], 0 offset:1672 ; 4-byte Folded Reload
	buffer_load_dword v3, off, s[40:43], 0 offset:1676 ; 4-byte Folded Reload
	;; [unrolled: 4-line block ×5, first 2 shown]
	buffer_load_dword v2, off, s[40:43], 0 offset:1776 ; 4-byte Folded Reload
	buffer_load_dword v3, off, s[40:43], 0 offset:1780 ; 4-byte Folded Reload
	s_waitcnt vmcnt(2)
	v_fma_f64 v[8:9], v[60:61], v[4:5], v[8:9]
	s_waitcnt vmcnt(0)
	v_fma_f64 v[12:13], v[4:5], v[2:3], v[12:13]
	buffer_load_dword v2, off, s[40:43], 0 offset:1728 ; 4-byte Folded Reload
	buffer_load_dword v3, off, s[40:43], 0 offset:1732 ; 4-byte Folded Reload
	v_fma_f64 v[10:11], v[4:5], v[62:63], v[10:11]
	v_fma_f64 v[30:31], v[4:5], v[0:1], v[30:31]
	s_waitcnt vmcnt(0)
	v_fma_f64 v[14:15], v[4:5], v[2:3], v[14:15]
	buffer_load_dword v2, off, s[40:43], 0 offset:1680 ; 4-byte Folded Reload
	buffer_load_dword v3, off, s[40:43], 0 offset:1684 ; 4-byte Folded Reload
	s_waitcnt vmcnt(0)
	v_fma_f64 v[16:17], v[4:5], v[2:3], v[16:17]
	buffer_load_dword v2, off, s[40:43], 0 offset:1632 ; 4-byte Folded Reload
	buffer_load_dword v3, off, s[40:43], 0 offset:1636 ; 4-byte Folded Reload
	;; [unrolled: 4-line block ×4, first 2 shown]
	buffer_load_dword v2, off, s[40:43], 0 offset:1840 ; 4-byte Folded Reload
	buffer_load_dword v3, off, s[40:43], 0 offset:1844 ; 4-byte Folded Reload
	s_waitcnt vmcnt(0)
	v_fma_f64 v[8:9], v[2:3], v[4:5], v[8:9]
	buffer_load_dword v2, off, s[40:43], 0 offset:1824 ; 4-byte Folded Reload
	buffer_load_dword v3, off, s[40:43], 0 offset:1828 ; 4-byte Folded Reload
	s_waitcnt vmcnt(0)
	v_fma_f64 v[32:33], v[4:5], v[2:3], v[10:11]
	;; [unrolled: 4-line block ×9, first 2 shown]
	v_fma_f64 v[12:13], v[4:5], v[46:47], v[32:33]
	v_fma_f64 v[14:15], v[4:5], v[26:27], v[34:35]
	;; [unrolled: 1-line block ×7, first 2 shown]
.LBB0_33:                               ;   in Loop: Header=BB0_21 Depth=1
	buffer_store_dword v22, off, s[40:43], 0 offset:2016 ; 4-byte Folded Spill
	s_nop 0
	buffer_store_dword v23, off, s[40:43], 0 offset:2020 ; 4-byte Folded Spill
	buffer_store_dword v46, off, s[40:43], 0 offset:2008 ; 4-byte Folded Spill
	s_nop 0
	buffer_store_dword v47, off, s[40:43], 0 offset:2012 ; 4-byte Folded Spill
	;; [unrolled: 3-line block ×9, first 2 shown]
	buffer_load_dword v4, off, s[40:43], 0 offset:1008 ; 4-byte Folded Reload
	buffer_load_dword v5, off, s[40:43], 0 offset:1012 ; 4-byte Folded Reload
	;; [unrolled: 1-line block ×6, first 2 shown]
	s_waitcnt vmcnt(4)
	v_div_scale_f64 v[32:33], s[30:31], v[4:5], v[4:5], 1.0
	v_rcp_f64_e32 v[34:35], v[32:33]
	v_fma_f64 v[36:37], -v[32:33], v[34:35], 1.0
	v_fma_f64 v[34:35], v[34:35], v[36:37], v[34:35]
	v_fma_f64 v[36:37], -v[32:33], v[34:35], 1.0
	v_fma_f64 v[34:35], v[34:35], v[36:37], v[34:35]
	v_div_scale_f64 v[36:37], vcc, 1.0, v[4:5], 1.0
	v_mul_f64 v[38:39], v[36:37], v[34:35]
	v_fma_f64 v[32:33], -v[32:33], v[38:39], v[36:37]
	s_nop 1
	v_div_fmas_f64 v[32:33], v[32:33], v[34:35], v[38:39]
	s_and_b64 vcc, exec, s[0:1]
	v_div_fixup_f64 v[36:37], v[32:33], v[4:5], 1.0
	s_waitcnt vmcnt(2)
	v_mov_b32_e32 v5, v1
	v_mov_b32_e32 v4, v0
	buffer_store_dword v4, off, s[40:43], 0 offset:1152 ; 4-byte Folded Spill
	s_nop 0
	buffer_store_dword v5, off, s[40:43], 0 offset:1156 ; 4-byte Folded Spill
	s_waitcnt vmcnt(2)
	v_mov_b32_e32 v5, v3
	v_mov_b32_e32 v4, v2
	buffer_store_dword v4, off, s[40:43], 0 offset:1040 ; 4-byte Folded Spill
	s_nop 0
	buffer_store_dword v5, off, s[40:43], 0 offset:1044 ; 4-byte Folded Spill
	buffer_load_dword v0, off, s[40:43], 0 offset:176 ; 4-byte Folded Reload
	buffer_load_dword v1, off, s[40:43], 0 offset:180 ; 4-byte Folded Reload
	buffer_load_dword v2, off, s[40:43], 0 offset:184 ; 4-byte Folded Reload
	buffer_load_dword v3, off, s[40:43], 0 offset:188 ; 4-byte Folded Reload
	v_mul_f64 v[6:7], v[36:37], v[8:9]
	v_mul_f64 v[26:27], v[36:37], v[30:31]
	;; [unrolled: 1-line block ×8, first 2 shown]
	s_waitcnt vmcnt(2)
	v_mov_b32_e32 v5, v1
	v_mov_b32_e32 v4, v0
	buffer_store_dword v4, off, s[40:43], 0 offset:1144 ; 4-byte Folded Spill
	s_nop 0
	buffer_store_dword v5, off, s[40:43], 0 offset:1148 ; 4-byte Folded Spill
	s_waitcnt vmcnt(2)
	v_mov_b32_e32 v5, v3
	v_mov_b32_e32 v4, v2
	buffer_store_dword v4, off, s[40:43], 0 offset:912 ; 4-byte Folded Spill
	s_nop 0
	buffer_store_dword v5, off, s[40:43], 0 offset:916 ; 4-byte Folded Spill
	buffer_load_dword v0, off, s[40:43], 0 offset:240 ; 4-byte Folded Reload
	buffer_load_dword v1, off, s[40:43], 0 offset:244 ; 4-byte Folded Reload
	buffer_load_dword v2, off, s[40:43], 0 offset:248 ; 4-byte Folded Reload
	buffer_load_dword v3, off, s[40:43], 0 offset:252 ; 4-byte Folded Reload
	s_waitcnt vmcnt(2)
	v_mov_b32_e32 v5, v1
	v_mov_b32_e32 v4, v0
	buffer_store_dword v4, off, s[40:43], 0 offset:544 ; 4-byte Folded Spill
	s_nop 0
	buffer_store_dword v5, off, s[40:43], 0 offset:548 ; 4-byte Folded Spill
	s_waitcnt vmcnt(2)
	v_mov_b32_e32 v5, v3
	v_mov_b32_e32 v4, v2
	buffer_store_dword v4, off, s[40:43], 0 offset:752 ; 4-byte Folded Spill
	s_nop 0
	buffer_store_dword v5, off, s[40:43], 0 offset:756 ; 4-byte Folded Spill
	buffer_load_dword v0, off, s[40:43], 0 offset:272 ; 4-byte Folded Reload
	buffer_load_dword v1, off, s[40:43], 0 offset:276 ; 4-byte Folded Reload
	buffer_load_dword v2, off, s[40:43], 0 offset:280 ; 4-byte Folded Reload
	buffer_load_dword v3, off, s[40:43], 0 offset:284 ; 4-byte Folded Reload
	;; [unrolled: 16-line block ×6, first 2 shown]
	s_waitcnt vmcnt(2)
	v_mov_b32_e32 v5, v1
	v_mov_b32_e32 v4, v0
	s_waitcnt vmcnt(0)
	v_mov_b32_e32 v9, v3
	v_mov_b32_e32 v8, v2
	buffer_store_dword v4, off, s[40:43], 0 offset:784 ; 4-byte Folded Spill
	s_nop 0
	buffer_store_dword v5, off, s[40:43], 0 offset:788 ; 4-byte Folded Spill
	buffer_store_dword v8, off, s[40:43], 0 offset:720 ; 4-byte Folded Spill
	s_nop 0
	buffer_store_dword v9, off, s[40:43], 0 offset:724 ; 4-byte Folded Spill
	buffer_load_dword v56, off, s[40:43], 0 offset:208 ; 4-byte Folded Reload
	buffer_load_dword v57, off, s[40:43], 0 offset:212 ; 4-byte Folded Reload
	buffer_load_dword v58, off, s[40:43], 0 offset:216 ; 4-byte Folded Reload
	buffer_load_dword v59, off, s[40:43], 0 offset:220 ; 4-byte Folded Reload
	s_waitcnt vmcnt(2)
	v_mov_b32_e32 v4, v56
	v_mov_b32_e32 v5, v57
	buffer_store_dword v4, off, s[40:43], 0 offset:1072 ; 4-byte Folded Spill
	s_nop 0
	buffer_store_dword v5, off, s[40:43], 0 offset:1076 ; 4-byte Folded Spill
	s_waitcnt vmcnt(2)
	v_mov_b32_e32 v4, v58
	v_mov_b32_e32 v5, v59
	buffer_store_dword v4, off, s[40:43], 0 offset:1056 ; 4-byte Folded Spill
	s_nop 0
	buffer_store_dword v5, off, s[40:43], 0 offset:1060 ; 4-byte Folded Spill
	buffer_load_dword v34, off, s[40:43], 0 offset:128 ; 4-byte Folded Reload
	buffer_load_dword v35, off, s[40:43], 0 offset:132 ; 4-byte Folded Reload
	buffer_load_dword v36, off, s[40:43], 0 offset:136 ; 4-byte Folded Reload
	buffer_load_dword v37, off, s[40:43], 0 offset:140 ; 4-byte Folded Reload
	s_waitcnt vmcnt(2)
	v_mov_b32_e32 v4, v34
	v_mov_b32_e32 v5, v35
	buffer_store_dword v4, off, s[40:43], 0 offset:1024 ; 4-byte Folded Spill
	s_nop 0
	buffer_store_dword v5, off, s[40:43], 0 offset:1028 ; 4-byte Folded Spill
	s_waitcnt vmcnt(2)
	v_mov_b32_e32 v4, v36
	v_mov_b32_e32 v5, v37
	buffer_store_dword v4, off, s[40:43], 0 offset:960 ; 4-byte Folded Spill
	s_nop 0
	buffer_store_dword v5, off, s[40:43], 0 offset:964 ; 4-byte Folded Spill
	buffer_load_dword v52, off, s[40:43], 0 offset:64 ; 4-byte Folded Reload
	buffer_load_dword v53, off, s[40:43], 0 offset:68 ; 4-byte Folded Reload
	buffer_load_dword v54, off, s[40:43], 0 offset:72 ; 4-byte Folded Reload
	buffer_load_dword v55, off, s[40:43], 0 offset:76 ; 4-byte Folded Reload
	s_waitcnt vmcnt(2)
	v_mov_b32_e32 v4, v52
	v_mov_b32_e32 v5, v53
	buffer_store_dword v4, off, s[40:43], 0 offset:864 ; 4-byte Folded Spill
	s_nop 0
	buffer_store_dword v5, off, s[40:43], 0 offset:868 ; 4-byte Folded Spill
	s_waitcnt vmcnt(2)
	v_mov_b32_e32 v4, v54
	v_mov_b32_e32 v5, v55
	buffer_store_dword v4, off, s[40:43], 0 offset:1104 ; 4-byte Folded Spill
	s_nop 0
	buffer_store_dword v5, off, s[40:43], 0 offset:1108 ; 4-byte Folded Spill
	buffer_load_dword v16, off, s[40:43], 0 offset:112 ; 4-byte Folded Reload
	buffer_load_dword v17, off, s[40:43], 0 offset:116 ; 4-byte Folded Reload
	;; [unrolled: 1-line block ×4, first 2 shown]
	s_waitcnt vmcnt(2)
	v_mov_b32_e32 v0, v16
	v_mov_b32_e32 v1, v17
	buffer_store_dword v0, off, s[40:43], 0 offset:1112 ; 4-byte Folded Spill
	s_nop 0
	buffer_store_dword v1, off, s[40:43], 0 offset:1116 ; 4-byte Folded Spill
	buffer_load_dword v0, off, s[40:43], 0 offset:336 ; 4-byte Folded Reload
	s_nop 0
	buffer_load_dword v1, off, s[40:43], 0 offset:340 ; 4-byte Folded Reload
	buffer_load_dword v2, off, s[40:43], 0 offset:344 ; 4-byte Folded Reload
	;; [unrolled: 1-line block ×3, first 2 shown]
	s_waitcnt vmcnt(6)
	v_mov_b32_e32 v21, v19
	v_mov_b32_e32 v20, v18
	s_waitcnt vmcnt(2)
	v_mov_b32_e32 v9, v1
	v_mov_b32_e32 v8, v0
	buffer_store_dword v8, off, s[40:43], 0 offset:1248 ; 4-byte Folded Spill
	s_nop 0
	buffer_store_dword v9, off, s[40:43], 0 offset:1252 ; 4-byte Folded Spill
	s_waitcnt vmcnt(2)
	v_mov_b32_e32 v9, v3
	v_mov_b32_e32 v8, v2
	buffer_store_dword v8, off, s[40:43], 0 offset:656 ; 4-byte Folded Spill
	s_nop 0
	buffer_store_dword v9, off, s[40:43], 0 offset:660 ; 4-byte Folded Spill
	buffer_load_dword v0, off, s[40:43], 0 offset:144 ; 4-byte Folded Reload
	buffer_load_dword v1, off, s[40:43], 0 offset:148 ; 4-byte Folded Reload
	;; [unrolled: 1-line block ×4, first 2 shown]
	s_waitcnt vmcnt(2)
	v_mov_b32_e32 v9, v1
	v_mov_b32_e32 v8, v0
	buffer_store_dword v8, off, s[40:43], 0 offset:592 ; 4-byte Folded Spill
	s_nop 0
	buffer_store_dword v9, off, s[40:43], 0 offset:596 ; 4-byte Folded Spill
	s_waitcnt vmcnt(2)
	v_mov_b32_e32 v9, v3
	v_mov_b32_e32 v8, v2
	buffer_store_dword v8, off, s[40:43], 0 offset:576 ; 4-byte Folded Spill
	s_nop 0
	buffer_store_dword v9, off, s[40:43], 0 offset:580 ; 4-byte Folded Spill
	buffer_load_dword v0, off, s[40:43], 0  ; 4-byte Folded Reload
	buffer_load_dword v1, off, s[40:43], 0 offset:4 ; 4-byte Folded Reload
	buffer_load_dword v2, off, s[40:43], 0 offset:8 ; 4-byte Folded Reload
	;; [unrolled: 1-line block ×3, first 2 shown]
	s_waitcnt vmcnt(2)
	v_mov_b32_e32 v9, v1
	v_mov_b32_e32 v8, v0
	buffer_store_dword v8, off, s[40:43], 0 offset:896 ; 4-byte Folded Spill
	s_nop 0
	buffer_store_dword v9, off, s[40:43], 0 offset:900 ; 4-byte Folded Spill
	s_waitcnt vmcnt(2)
	v_mov_b32_e32 v9, v3
	v_mov_b32_e32 v8, v2
	buffer_store_dword v8, off, s[40:43], 0 offset:1160 ; 4-byte Folded Spill
	s_nop 0
	buffer_store_dword v9, off, s[40:43], 0 offset:1164 ; 4-byte Folded Spill
	buffer_load_dword v0, off, s[40:43], 0 offset:32 ; 4-byte Folded Reload
	buffer_load_dword v1, off, s[40:43], 0 offset:36 ; 4-byte Folded Reload
	buffer_load_dword v2, off, s[40:43], 0 offset:40 ; 4-byte Folded Reload
	buffer_load_dword v3, off, s[40:43], 0 offset:44 ; 4-byte Folded Reload
	s_waitcnt vmcnt(2)
	v_mov_b32_e32 v9, v1
	v_mov_b32_e32 v8, v0
	buffer_store_dword v8, off, s[40:43], 0 offset:736 ; 4-byte Folded Spill
	s_nop 0
	buffer_store_dword v9, off, s[40:43], 0 offset:740 ; 4-byte Folded Spill
	s_waitcnt vmcnt(2)
	v_mov_b32_e32 v15, v3
	v_mov_b32_e32 v14, v2
	buffer_load_dword v0, off, s[40:43], 0 offset:384 ; 4-byte Folded Reload
	buffer_load_dword v1, off, s[40:43], 0 offset:388 ; 4-byte Folded Reload
	buffer_load_dword v2, off, s[40:43], 0 offset:392 ; 4-byte Folded Reload
	buffer_load_dword v3, off, s[40:43], 0 offset:396 ; 4-byte Folded Reload
	s_waitcnt vmcnt(2)
	v_mov_b32_e32 v9, v1
	v_mov_b32_e32 v8, v0
	buffer_store_dword v8, off, s[40:43], 0 offset:1080 ; 4-byte Folded Spill
	s_nop 0
	buffer_store_dword v9, off, s[40:43], 0 offset:1084 ; 4-byte Folded Spill
	s_waitcnt vmcnt(2)
	v_mov_b32_e32 v9, v3
	v_mov_b32_e32 v8, v2
	buffer_store_dword v8, off, s[40:43], 0 offset:672 ; 4-byte Folded Spill
	s_nop 0
	buffer_store_dword v9, off, s[40:43], 0 offset:676 ; 4-byte Folded Spill
	buffer_load_dword v44, off, s[40:43], 0 offset:224 ; 4-byte Folded Reload
	buffer_load_dword v45, off, s[40:43], 0 offset:228 ; 4-byte Folded Reload
	buffer_load_dword v46, off, s[40:43], 0 offset:232 ; 4-byte Folded Reload
	buffer_load_dword v47, off, s[40:43], 0 offset:236 ; 4-byte Folded Reload
	s_waitcnt vmcnt(2)
	v_mov_b32_e32 v8, v44
	v_mov_b32_e32 v9, v45
	buffer_store_dword v8, off, s[40:43], 0 offset:608 ; 4-byte Folded Spill
	s_nop 0
	buffer_store_dword v9, off, s[40:43], 0 offset:612 ; 4-byte Folded Spill
	s_waitcnt vmcnt(2)
	v_mov_b32_e32 v8, v46
	v_mov_b32_e32 v9, v47
	buffer_store_dword v8, off, s[40:43], 0 offset:976 ; 4-byte Folded Spill
	s_nop 0
	buffer_store_dword v9, off, s[40:43], 0 offset:980 ; 4-byte Folded Spill
	buffer_load_dword v0, off, s[40:43], 0 offset:448 ; 4-byte Folded Reload
	buffer_load_dword v1, off, s[40:43], 0 offset:452 ; 4-byte Folded Reload
	buffer_load_dword v2, off, s[40:43], 0 offset:456 ; 4-byte Folded Reload
	buffer_load_dword v3, off, s[40:43], 0 offset:460 ; 4-byte Folded Reload
	s_waitcnt vmcnt(2)
	v_mov_b32_e32 v9, v1
	v_mov_b32_e32 v8, v0
	buffer_store_dword v8, off, s[40:43], 0 offset:928 ; 4-byte Folded Spill
	s_nop 0
	buffer_store_dword v9, off, s[40:43], 0 offset:932 ; 4-byte Folded Spill
	s_waitcnt vmcnt(2)
	v_mov_b32_e32 v9, v3
	v_mov_b32_e32 v8, v2
	buffer_store_dword v8, off, s[40:43], 0 offset:816 ; 4-byte Folded Spill
	s_nop 0
	buffer_store_dword v9, off, s[40:43], 0 offset:820 ; 4-byte Folded Spill
	buffer_load_dword v30, off, s[40:43], 0 offset:288 ; 4-byte Folded Reload
	buffer_load_dword v31, off, s[40:43], 0 offset:292 ; 4-byte Folded Reload
	;; [unrolled: 1-line block ×4, first 2 shown]
	s_waitcnt vmcnt(2)
	v_mov_b32_e32 v8, v30
	v_mov_b32_e32 v9, v31
	buffer_store_dword v8, off, s[40:43], 0 offset:528 ; 4-byte Folded Spill
	s_nop 0
	buffer_store_dword v9, off, s[40:43], 0 offset:532 ; 4-byte Folded Spill
	buffer_load_dword v0, off, s[40:43], 0 offset:352 ; 4-byte Folded Reload
	buffer_load_dword v1, off, s[40:43], 0 offset:356 ; 4-byte Folded Reload
	;; [unrolled: 1-line block ×4, first 2 shown]
	s_waitcnt vmcnt(6)
	v_mov_b32_e32 v10, v32
	v_mov_b32_e32 v11, v33
	s_waitcnt vmcnt(2)
	v_mov_b32_e32 v9, v1
	v_mov_b32_e32 v8, v0
	buffer_store_dword v8, off, s[40:43], 0 offset:1088 ; 4-byte Folded Spill
	s_nop 0
	buffer_store_dword v9, off, s[40:43], 0 offset:1092 ; 4-byte Folded Spill
	s_waitcnt vmcnt(2)
	v_mov_b32_e32 v9, v3
	v_mov_b32_e32 v8, v2
	buffer_store_dword v8, off, s[40:43], 0 offset:688 ; 4-byte Folded Spill
	s_nop 0
	buffer_store_dword v9, off, s[40:43], 0 offset:692 ; 4-byte Folded Spill
	buffer_load_dword v0, off, s[40:43], 0 offset:48 ; 4-byte Folded Reload
	buffer_load_dword v1, off, s[40:43], 0 offset:52 ; 4-byte Folded Reload
	buffer_load_dword v2, off, s[40:43], 0 offset:56 ; 4-byte Folded Reload
	buffer_load_dword v3, off, s[40:43], 0 offset:60 ; 4-byte Folded Reload
	s_waitcnt vmcnt(2)
	v_mov_b32_e32 v9, v1
	v_mov_b32_e32 v8, v0
	buffer_store_dword v8, off, s[40:43], 0 offset:624 ; 4-byte Folded Spill
	s_nop 0
	buffer_store_dword v9, off, s[40:43], 0 offset:628 ; 4-byte Folded Spill
	s_waitcnt vmcnt(2)
	v_mov_b32_e32 v9, v3
	v_mov_b32_e32 v8, v2
	buffer_store_dword v8, off, s[40:43], 0 offset:1008 ; 4-byte Folded Spill
	s_nop 0
	buffer_store_dword v9, off, s[40:43], 0 offset:1012 ; 4-byte Folded Spill
	buffer_load_dword v0, off, s[40:43], 0 offset:16 ; 4-byte Folded Reload
	buffer_load_dword v1, off, s[40:43], 0 offset:20 ; 4-byte Folded Reload
	buffer_load_dword v2, off, s[40:43], 0 offset:24 ; 4-byte Folded Reload
	buffer_load_dword v3, off, s[40:43], 0 offset:28 ; 4-byte Folded Reload
	;; [unrolled: 16-line block ×7, first 2 shown]
	s_waitcnt vmcnt(2)
	v_mov_b32_e32 v13, v1
	v_mov_b32_e32 v12, v0
	buffer_store_dword v12, off, s[40:43], 0 offset:800 ; 4-byte Folded Spill
	s_nop 0
	buffer_store_dword v13, off, s[40:43], 0 offset:804 ; 4-byte Folded Spill
	buffer_store_dword v40, off, s[40:43], 0 offset:1880 ; 4-byte Folded Spill
	s_nop 0
	buffer_store_dword v41, off, s[40:43], 0 offset:1884 ; 4-byte Folded Spill
	;; [unrolled: 3-line block ×15, first 2 shown]
	s_waitcnt vmcnt(30)
	v_mov_b32_e32 v13, v3
	v_mov_b32_e32 v12, v2
	buffer_store_dword v12, off, s[40:43], 0 offset:1128 ; 4-byte Folded Spill
	s_nop 0
	buffer_store_dword v13, off, s[40:43], 0 offset:1132 ; 4-byte Folded Spill
	v_mov_b32_e32 v22, v28
	v_mov_b32_e32 v63, v27
	;; [unrolled: 1-line block ×4, first 2 shown]
	s_cbranch_vccnz .LBB0_35
; %bb.34:                               ;   in Loop: Header=BB0_21 Depth=1
	buffer_load_dword v20, off, s[40:43], 0 offset:1352 ; 4-byte Folded Reload
	buffer_load_dword v21, off, s[40:43], 0 offset:1356 ; 4-byte Folded Reload
	;; [unrolled: 1-line block ×4, first 2 shown]
	v_mov_b32_e32 v51, v47
	v_mov_b32_e32 v50, v46
	;; [unrolled: 1-line block ×4, first 2 shown]
	s_waitcnt vmcnt(0)
	v_mul_f64 v[4:5], v[6:7], v[20:21]
	buffer_store_dword v4, off, s[40:43], 0 offset:1856 ; 4-byte Folded Spill
	s_nop 0
	buffer_store_dword v5, off, s[40:43], 0 offset:1860 ; 4-byte Folded Spill
	buffer_load_dword v10, off, s[40:43], 0 offset:1344 ; 4-byte Folded Reload
	buffer_load_dword v11, off, s[40:43], 0 offset:1348 ; 4-byte Folded Reload
	;; [unrolled: 1-line block ×6, first 2 shown]
	s_waitcnt vmcnt(2)
	v_fma_f64 v[4:5], -v[6:7], v[10:11], v[0:1]
	buffer_store_dword v4, off, s[40:43], 0 offset:1152 ; 4-byte Folded Spill
	s_nop 0
	buffer_store_dword v5, off, s[40:43], 0 offset:1156 ; 4-byte Folded Spill
	buffer_load_dword v8, off, s[40:43], 0 offset:1368 ; 4-byte Folded Reload
	buffer_load_dword v9, off, s[40:43], 0 offset:1372 ; 4-byte Folded Reload
	;; [unrolled: 1-line block ×6, first 2 shown]
	s_waitcnt vmcnt(2)
	v_fma_f64 v[4:5], -v[6:7], v[8:9], v[38:39]
	buffer_store_dword v4, off, s[40:43], 0 offset:1064 ; 4-byte Folded Spill
	s_nop 0
	buffer_store_dword v5, off, s[40:43], 0 offset:1068 ; 4-byte Folded Spill
	buffer_load_dword v42, off, s[40:43], 0 offset:1360 ; 4-byte Folded Reload
	buffer_load_dword v43, off, s[40:43], 0 offset:1364 ; 4-byte Folded Reload
	s_waitcnt vmcnt(0)
	v_fma_f64 v[4:5], -v[6:7], v[42:43], v[56:57]
	buffer_store_dword v4, off, s[40:43], 0 offset:1072 ; 4-byte Folded Spill
	s_nop 0
	buffer_store_dword v5, off, s[40:43], 0 offset:1076 ; 4-byte Folded Spill
	buffer_load_dword v14, off, s[40:43], 0 offset:1384 ; 4-byte Folded Reload
	buffer_load_dword v15, off, s[40:43], 0 offset:1388 ; 4-byte Folded Reload
	buffer_load_dword v60, off, s[40:43], 0 offset:336 ; 4-byte Folded Reload
	buffer_load_dword v61, off, s[40:43], 0 offset:340 ; 4-byte Folded Reload
	buffer_load_dword v62, off, s[40:43], 0 offset:344 ; 4-byte Folded Reload
	buffer_load_dword v63, off, s[40:43], 0 offset:348 ; 4-byte Folded Reload
	s_waitcnt vmcnt(2)
	v_fma_f64 v[4:5], -v[6:7], v[14:15], v[60:61]
	buffer_store_dword v4, off, s[40:43], 0 offset:1248 ; 4-byte Folded Spill
	s_nop 0
	buffer_store_dword v5, off, s[40:43], 0 offset:1252 ; 4-byte Folded Spill
	buffer_load_dword v12, off, s[40:43], 0 offset:1376 ; 4-byte Folded Reload
	buffer_load_dword v13, off, s[40:43], 0 offset:1380 ; 4-byte Folded Reload
	buffer_load_dword v22, off, s[40:43], 0 offset:384 ; 4-byte Folded Reload
	buffer_load_dword v23, off, s[40:43], 0 offset:388 ; 4-byte Folded Reload
	;; [unrolled: 11-line block ×4, first 2 shown]
	buffer_load_dword v46, off, s[40:43], 0 offset:200 ; 4-byte Folded Reload
	buffer_load_dword v47, off, s[40:43], 0 offset:204 ; 4-byte Folded Reload
	s_waitcnt vmcnt(2)
	v_fma_f64 v[4:5], -v[6:7], v[26:27], v[44:45]
	buffer_store_dword v4, off, s[40:43], 0 offset:1096 ; 4-byte Folded Spill
	s_nop 0
	buffer_store_dword v5, off, s[40:43], 0 offset:1100 ; 4-byte Folded Spill
	buffer_load_dword v6, off, s[40:43], 0 offset:1864 ; 4-byte Folded Reload
	buffer_load_dword v7, off, s[40:43], 0 offset:1868 ; 4-byte Folded Reload
	s_waitcnt vmcnt(0)
	v_mul_f64 v[4:5], v[6:7], v[20:21]
	buffer_store_dword v4, off, s[40:43], 0 offset:1312 ; 4-byte Folded Spill
	s_nop 0
	buffer_store_dword v5, off, s[40:43], 0 offset:1316 ; 4-byte Folded Spill
	v_fma_f64 v[4:5], -v[6:7], v[10:11], v[2:3]
	buffer_store_dword v4, off, s[40:43], 0 offset:1040 ; 4-byte Folded Spill
	s_nop 0
	buffer_store_dword v5, off, s[40:43], 0 offset:1044 ; 4-byte Folded Spill
	v_fma_f64 v[4:5], -v[6:7], v[8:9], v[40:41]
	;; [unrolled: 4-line block ×7, first 2 shown]
	buffer_store_dword v4, off, s[40:43], 0 offset:704 ; 4-byte Folded Spill
	s_nop 0
	buffer_store_dword v5, off, s[40:43], 0 offset:708 ; 4-byte Folded Spill
	buffer_load_dword v6, off, s[40:43], 0 offset:1296 ; 4-byte Folded Reload
	buffer_load_dword v7, off, s[40:43], 0 offset:1300 ; 4-byte Folded Reload
	s_waitcnt vmcnt(0)
	v_mul_f64 v[4:5], v[6:7], v[20:21]
	buffer_store_dword v4, off, s[40:43], 0 offset:1848 ; 4-byte Folded Spill
	s_nop 0
	buffer_store_dword v5, off, s[40:43], 0 offset:1852 ; 4-byte Folded Spill
	buffer_load_dword v0, off, s[40:43], 0 offset:176 ; 4-byte Folded Reload
	buffer_load_dword v1, off, s[40:43], 0 offset:180 ; 4-byte Folded Reload
	;; [unrolled: 1-line block ×4, first 2 shown]
	s_waitcnt vmcnt(2)
	v_fma_f64 v[4:5], -v[6:7], v[10:11], v[0:1]
	buffer_store_dword v4, off, s[40:43], 0 offset:1144 ; 4-byte Folded Spill
	s_nop 0
	buffer_store_dword v5, off, s[40:43], 0 offset:1148 ; 4-byte Folded Spill
	buffer_load_dword v22, off, s[40:43], 0 offset:80 ; 4-byte Folded Reload
	buffer_load_dword v23, off, s[40:43], 0 offset:84 ; 4-byte Folded Reload
	buffer_load_dword v24, off, s[40:43], 0 offset:88 ; 4-byte Folded Reload
	buffer_load_dword v25, off, s[40:43], 0 offset:92 ; 4-byte Folded Reload
	s_waitcnt vmcnt(2)
	v_fma_f64 v[4:5], -v[6:7], v[8:9], v[22:23]
	buffer_store_dword v4, off, s[40:43], 0 offset:992 ; 4-byte Folded Spill
	s_nop 0
	buffer_store_dword v5, off, s[40:43], 0 offset:996 ; 4-byte Folded Spill
	v_fma_f64 v[4:5], -v[6:7], v[42:43], v[34:35]
	buffer_store_dword v4, off, s[40:43], 0 offset:1024 ; 4-byte Folded Spill
	s_nop 0
	buffer_store_dword v5, off, s[40:43], 0 offset:1028 ; 4-byte Folded Spill
	buffer_load_dword v60, off, s[40:43], 0 offset:144 ; 4-byte Folded Reload
	buffer_load_dword v61, off, s[40:43], 0 offset:148 ; 4-byte Folded Reload
	buffer_load_dword v62, off, s[40:43], 0 offset:152 ; 4-byte Folded Reload
	buffer_load_dword v63, off, s[40:43], 0 offset:156 ; 4-byte Folded Reload
	s_waitcnt vmcnt(2)
	v_fma_f64 v[4:5], -v[6:7], v[14:15], v[60:61]
	buffer_store_dword v4, off, s[40:43], 0 offset:592 ; 4-byte Folded Spill
	s_nop 0
	buffer_store_dword v5, off, s[40:43], 0 offset:596 ; 4-byte Folded Spill
	v_fma_f64 v[4:5], -v[6:7], v[12:13], v[48:49]
	buffer_store_dword v4, off, s[40:43], 0 offset:608 ; 4-byte Folded Spill
	s_nop 0
	buffer_store_dword v5, off, s[40:43], 0 offset:612 ; 4-byte Folded Spill
	buffer_load_dword v38, off, s[40:43], 0 offset:48 ; 4-byte Folded Reload
	buffer_load_dword v39, off, s[40:43], 0 offset:52 ; 4-byte Folded Reload
	buffer_load_dword v40, off, s[40:43], 0 offset:56 ; 4-byte Folded Reload
	buffer_load_dword v41, off, s[40:43], 0 offset:60 ; 4-byte Folded Reload
	s_waitcnt vmcnt(2)
	v_fma_f64 v[4:5], -v[6:7], v[28:29], v[38:39]
	buffer_store_dword v4, off, s[40:43], 0 offset:624 ; 4-byte Folded Spill
	s_nop 0
	buffer_store_dword v5, off, s[40:43], 0 offset:628 ; 4-byte Folded Spill
	buffer_load_dword v52, off, s[40:43], 0 offset:368 ; 4-byte Folded Reload
	buffer_load_dword v53, off, s[40:43], 0 offset:372 ; 4-byte Folded Reload
	;; [unrolled: 1-line block ×4, first 2 shown]
	s_waitcnt vmcnt(2)
	v_fma_f64 v[4:5], -v[6:7], v[26:27], v[52:53]
	buffer_store_dword v4, off, s[40:43], 0 offset:640 ; 4-byte Folded Spill
	s_nop 0
	buffer_store_dword v5, off, s[40:43], 0 offset:644 ; 4-byte Folded Spill
	buffer_load_dword v6, off, s[40:43], 0 offset:1288 ; 4-byte Folded Reload
	buffer_load_dword v7, off, s[40:43], 0 offset:1292 ; 4-byte Folded Reload
	s_waitcnt vmcnt(0)
	v_mul_f64 v[4:5], v[6:7], v[20:21]
	buffer_store_dword v4, off, s[40:43], 0 offset:1872 ; 4-byte Folded Spill
	s_nop 0
	buffer_store_dword v5, off, s[40:43], 0 offset:1876 ; 4-byte Folded Spill
	v_fma_f64 v[4:5], -v[6:7], v[10:11], v[2:3]
	buffer_store_dword v4, off, s[40:43], 0 offset:912 ; 4-byte Folded Spill
	s_nop 0
	buffer_store_dword v5, off, s[40:43], 0 offset:916 ; 4-byte Folded Spill
	v_fma_f64 v[4:5], -v[6:7], v[8:9], v[24:25]
	;; [unrolled: 4-line block ×7, first 2 shown]
	buffer_store_dword v4, off, s[40:43], 0 offset:1032 ; 4-byte Folded Spill
	s_nop 0
	buffer_store_dword v5, off, s[40:43], 0 offset:1036 ; 4-byte Folded Spill
	buffer_load_dword v6, off, s[40:43], 0 offset:1280 ; 4-byte Folded Reload
	buffer_load_dword v7, off, s[40:43], 0 offset:1284 ; 4-byte Folded Reload
	s_waitcnt vmcnt(0)
	v_mul_f64 v[4:5], v[6:7], v[20:21]
	buffer_store_dword v4, off, s[40:43], 0 offset:1304 ; 4-byte Folded Spill
	s_nop 0
	buffer_store_dword v5, off, s[40:43], 0 offset:1308 ; 4-byte Folded Spill
	buffer_load_dword v16, off, s[40:43], 0 offset:240 ; 4-byte Folded Reload
	buffer_load_dword v17, off, s[40:43], 0 offset:244 ; 4-byte Folded Reload
	;; [unrolled: 1-line block ×4, first 2 shown]
	s_waitcnt vmcnt(2)
	v_fma_f64 v[4:5], -v[6:7], v[10:11], v[16:17]
	buffer_store_dword v4, off, s[40:43], 0 offset:544 ; 4-byte Folded Spill
	s_nop 0
	buffer_store_dword v5, off, s[40:43], 0 offset:548 ; 4-byte Folded Spill
	buffer_load_dword v22, off, s[40:43], 0 offset:496 ; 4-byte Folded Reload
	buffer_load_dword v23, off, s[40:43], 0 offset:500 ; 4-byte Folded Reload
	;; [unrolled: 1-line block ×4, first 2 shown]
	s_waitcnt vmcnt(2)
	v_fma_f64 v[4:5], -v[6:7], v[8:9], v[22:23]
	buffer_store_dword v4, off, s[40:43], 0 offset:832 ; 4-byte Folded Spill
	s_nop 0
	buffer_store_dword v5, off, s[40:43], 0 offset:836 ; 4-byte Folded Spill
	buffer_load_dword v0, off, s[40:43], 0 offset:64 ; 4-byte Folded Reload
	buffer_load_dword v1, off, s[40:43], 0 offset:68 ; 4-byte Folded Reload
	;; [unrolled: 1-line block ×4, first 2 shown]
	s_waitcnt vmcnt(6)
	v_mov_b32_e32 v35, v25
	v_mov_b32_e32 v34, v24
	;; [unrolled: 1-line block ×4, first 2 shown]
	s_waitcnt vmcnt(2)
	v_fma_f64 v[4:5], -v[6:7], v[42:43], v[0:1]
	buffer_store_dword v4, off, s[40:43], 0 offset:864 ; 4-byte Folded Spill
	s_nop 0
	buffer_store_dword v5, off, s[40:43], 0 offset:868 ; 4-byte Folded Spill
	buffer_load_dword v44, off, s[40:43], 0 ; 4-byte Folded Reload
	buffer_load_dword v45, off, s[40:43], 0 offset:4 ; 4-byte Folded Reload
	buffer_load_dword v46, off, s[40:43], 0 offset:8 ; 4-byte Folded Reload
	buffer_load_dword v47, off, s[40:43], 0 offset:12 ; 4-byte Folded Reload
	s_waitcnt vmcnt(2)
	v_fma_f64 v[4:5], -v[6:7], v[14:15], v[44:45]
	buffer_store_dword v4, off, s[40:43], 0 offset:896 ; 4-byte Folded Spill
	s_nop 0
	buffer_store_dword v5, off, s[40:43], 0 offset:900 ; 4-byte Folded Spill
	buffer_load_dword v38, off, s[40:43], 0 offset:448 ; 4-byte Folded Reload
	buffer_load_dword v39, off, s[40:43], 0 offset:452 ; 4-byte Folded Reload
	buffer_load_dword v40, off, s[40:43], 0 offset:456 ; 4-byte Folded Reload
	buffer_load_dword v41, off, s[40:43], 0 offset:460 ; 4-byte Folded Reload
	s_waitcnt vmcnt(2)
	v_fma_f64 v[4:5], -v[6:7], v[12:13], v[38:39]
	buffer_store_dword v4, off, s[40:43], 0 offset:928 ; 4-byte Folded Spill
	s_nop 0
	buffer_store_dword v5, off, s[40:43], 0 offset:932 ; 4-byte Folded Spill
	buffer_load_dword v60, off, s[40:43], 0 offset:16 ; 4-byte Folded Reload
	;; [unrolled: 9-line block ×4, first 2 shown]
	buffer_load_dword v61, off, s[40:43], 0 offset:1276 ; 4-byte Folded Reload
	buffer_load_dword v0, off, s[40:43], 0 offset:432 ; 4-byte Folded Reload
	;; [unrolled: 1-line block ×5, first 2 shown]
	s_waitcnt vmcnt(4)
	v_mul_f64 v[4:5], v[60:61], v[20:21]
	buffer_store_dword v4, off, s[40:43], 0 offset:1888 ; 4-byte Folded Spill
	s_nop 0
	buffer_store_dword v5, off, s[40:43], 0 offset:1892 ; 4-byte Folded Spill
	v_fma_f64 v[4:5], -v[60:61], v[10:11], v[18:19]
	buffer_store_dword v4, off, s[40:43], 0 offset:752 ; 4-byte Folded Spill
	s_nop 0
	buffer_store_dword v5, off, s[40:43], 0 offset:756 ; 4-byte Folded Spill
	v_fma_f64 v[4:5], -v[60:61], v[8:9], v[34:35]
	buffer_store_dword v4, off, s[40:43], 0 offset:1120 ; 4-byte Folded Spill
	s_nop 0
	buffer_store_dword v5, off, s[40:43], 0 offset:1124 ; 4-byte Folded Spill
	buffer_load_dword v4, off, s[40:43], 0 offset:64 ; 4-byte Folded Reload
	s_nop 0
	buffer_load_dword v5, off, s[40:43], 0 offset:68 ; 4-byte Folded Reload
	buffer_load_dword v6, off, s[40:43], 0 offset:72 ; 4-byte Folded Reload
	;; [unrolled: 1-line block ×3, first 2 shown]
	s_waitcnt vmcnt(0)
	v_fma_f64 v[4:5], -v[60:61], v[42:43], v[6:7]
	buffer_store_dword v4, off, s[40:43], 0 offset:1104 ; 4-byte Folded Spill
	s_nop 0
	buffer_store_dword v5, off, s[40:43], 0 offset:1108 ; 4-byte Folded Spill
	v_fma_f64 v[4:5], -v[60:61], v[14:15], v[46:47]
	v_mov_b32_e32 v44, v48
	v_mov_b32_e32 v45, v49
	;; [unrolled: 1-line block ×4, first 2 shown]
	buffer_load_dword v48, off, s[40:43], 0 offset:272 ; 4-byte Folded Reload
	buffer_load_dword v49, off, s[40:43], 0 offset:276 ; 4-byte Folded Reload
	;; [unrolled: 1-line block ×8, first 2 shown]
	s_nop 0
	buffer_store_dword v4, off, s[40:43], 0 offset:1160 ; 4-byte Folded Spill
	s_nop 0
	buffer_store_dword v5, off, s[40:43], 0 offset:1164 ; 4-byte Folded Spill
	v_fma_f64 v[4:5], -v[60:61], v[12:13], v[40:41]
	buffer_store_dword v4, off, s[40:43], 0 offset:816 ; 4-byte Folded Spill
	s_nop 0
	buffer_store_dword v5, off, s[40:43], 0 offset:820 ; 4-byte Folded Spill
	v_fma_f64 v[4:5], -v[60:61], v[28:29], v[62:63]
	;; [unrolled: 4-line block ×3, first 2 shown]
	buffer_store_dword v4, off, s[40:43], 0 offset:880 ; 4-byte Folded Spill
	s_nop 0
	buffer_store_dword v5, off, s[40:43], 0 offset:884 ; 4-byte Folded Spill
	buffer_load_dword v62, off, s[40:43], 0 offset:1264 ; 4-byte Folded Reload
	buffer_load_dword v63, off, s[40:43], 0 offset:1268 ; 4-byte Folded Reload
	s_waitcnt vmcnt(0)
	v_fma_f64 v[4:5], -v[62:63], v[10:11], v[48:49]
	v_mul_f64 v[22:23], v[62:63], v[20:21]
	buffer_store_dword v4, off, s[40:43], 0 offset:512 ; 4-byte Folded Spill
	s_nop 0
	buffer_store_dword v5, off, s[40:43], 0 offset:516 ; 4-byte Folded Spill
	v_fma_f64 v[4:5], -v[62:63], v[8:9], v[0:1]
	buffer_store_dword v4, off, s[40:43], 0 offset:784 ; 4-byte Folded Spill
	s_nop 0
	buffer_store_dword v5, off, s[40:43], 0 offset:788 ; 4-byte Folded Spill
	buffer_load_dword v38, off, s[40:43], 0 offset:112 ; 4-byte Folded Reload
	buffer_load_dword v39, off, s[40:43], 0 offset:116 ; 4-byte Folded Reload
	buffer_load_dword v40, off, s[40:43], 0 offset:120 ; 4-byte Folded Reload
	buffer_load_dword v41, off, s[40:43], 0 offset:124 ; 4-byte Folded Reload
	s_waitcnt vmcnt(2)
	v_fma_f64 v[0:1], -v[62:63], v[42:43], v[38:39]
	buffer_store_dword v0, off, s[40:43], 0 offset:1112 ; 4-byte Folded Spill
	s_nop 0
	buffer_store_dword v1, off, s[40:43], 0 offset:1116 ; 4-byte Folded Spill
	buffer_load_dword v4, off, s[40:43], 0 offset:32 ; 4-byte Folded Reload
	buffer_load_dword v5, off, s[40:43], 0 offset:36 ; 4-byte Folded Reload
	;; [unrolled: 1-line block ×4, first 2 shown]
	s_waitcnt vmcnt(2)
	v_fma_f64 v[60:61], -v[62:63], v[14:15], v[4:5]
	buffer_store_dword v60, off, s[40:43], 0 offset:736 ; 4-byte Folded Spill
	s_nop 0
	buffer_store_dword v61, off, s[40:43], 0 offset:740 ; 4-byte Folded Spill
	v_fma_f64 v[60:61], -v[62:63], v[12:13], v[30:31]
	buffer_store_dword v60, off, s[40:43], 0 offset:528 ; 4-byte Folded Spill
	s_nop 0
	buffer_store_dword v61, off, s[40:43], 0 offset:532 ; 4-byte Folded Spill
	buffer_load_dword v30, off, s[40:43], 0 offset:160 ; 4-byte Folded Reload
	buffer_load_dword v31, off, s[40:43], 0 offset:164 ; 4-byte Folded Reload
	;; [unrolled: 1-line block ×4, first 2 shown]
	s_waitcnt vmcnt(2)
	v_fma_f64 v[60:61], -v[62:63], v[28:29], v[30:31]
	buffer_store_dword v60, off, s[40:43], 0 offset:768 ; 4-byte Folded Spill
	s_nop 0
	buffer_store_dword v61, off, s[40:43], 0 offset:772 ; 4-byte Folded Spill
	buffer_load_dword v16, off, s[40:43], 0 offset:256 ; 4-byte Folded Reload
	buffer_load_dword v17, off, s[40:43], 0 offset:260 ; 4-byte Folded Reload
	;; [unrolled: 1-line block ×4, first 2 shown]
	s_waitcnt vmcnt(2)
	v_fma_f64 v[60:61], -v[62:63], v[26:27], v[16:17]
	buffer_store_dword v60, off, s[40:43], 0 offset:800 ; 4-byte Folded Spill
	s_nop 0
	buffer_store_dword v61, off, s[40:43], 0 offset:804 ; 4-byte Folded Spill
	buffer_load_dword v60, off, s[40:43], 0 offset:1232 ; 4-byte Folded Reload
	s_nop 0
	buffer_load_dword v61, off, s[40:43], 0 offset:1236 ; 4-byte Folded Reload
	s_waitcnt vmcnt(0)
	v_fma_f64 v[10:11], -v[60:61], v[10:11], v[50:51]
	v_fma_f64 v[8:9], -v[60:61], v[8:9], v[2:3]
	;; [unrolled: 1-line block ×4, first 2 shown]
	v_mul_f64 v[62:63], v[60:61], v[20:21]
	v_fma_f64 v[20:21], -v[60:61], v[42:43], v[40:41]
	buffer_store_dword v10, off, s[40:43], 0 offset:1240 ; 4-byte Folded Spill
	s_nop 0
	buffer_store_dword v11, off, s[40:43], 0 offset:1244 ; 4-byte Folded Spill
	buffer_store_dword v8, off, s[40:43], 0 offset:720 ; 4-byte Folded Spill
	s_nop 0
	buffer_store_dword v9, off, s[40:43], 0 offset:724 ; 4-byte Folded Spill
	buffer_load_dword v52, off, s[40:43], 0 offset:64 ; 4-byte Folded Reload
	buffer_load_dword v53, off, s[40:43], 0 offset:68 ; 4-byte Folded Reload
	;; [unrolled: 1-line block ×12, first 2 shown]
	s_nop 0
	buffer_store_dword v6, off, s[40:43], 0 offset:1256 ; 4-byte Folded Spill
	s_nop 0
	buffer_store_dword v7, off, s[40:43], 0 offset:1260 ; 4-byte Folded Spill
	s_waitcnt vmcnt(6)
	v_fma_f64 v[10:11], -v[60:61], v[12:13], v[2:3]
	v_fma_f64 v[12:13], -v[60:61], v[26:27], v[18:19]
	buffer_store_dword v12, off, s[40:43], 0 offset:1128 ; 4-byte Folded Spill
	s_nop 0
	buffer_store_dword v13, off, s[40:43], 0 offset:1132 ; 4-byte Folded Spill
.LBB0_35:                               ;   in Loop: Header=BB0_21 Depth=1
	buffer_store_dword v22, off, s[40:43], 0 offset:2032 ; 4-byte Folded Spill
	s_nop 0
	buffer_store_dword v23, off, s[40:43], 0 offset:2036 ; 4-byte Folded Spill
	buffer_store_dword v62, off, s[40:43], 0 offset:1952 ; 4-byte Folded Spill
	s_nop 0
	buffer_store_dword v63, off, s[40:43], 0 offset:1956 ; 4-byte Folded Spill
	;; [unrolled: 3-line block ×5, first 2 shown]
	v_mov_b32_e32 v63, v47
	v_mov_b32_e32 v6, v52
	;; [unrolled: 1-line block ×10, first 2 shown]
	buffer_load_dword v52, off, s[40:43], 0 offset:336 ; 4-byte Folded Reload
	buffer_load_dword v53, off, s[40:43], 0 offset:340 ; 4-byte Folded Reload
	;; [unrolled: 1-line block ×8, first 2 shown]
	v_mov_b32_e32 v45, v57
	v_mov_b32_e32 v46, v58
	;; [unrolled: 1-line block ×6, first 2 shown]
	buffer_load_dword v0, off, s[40:43], 0 offset:400 ; 4-byte Folded Reload
	buffer_load_dword v1, off, s[40:43], 0 offset:404 ; 4-byte Folded Reload
	;; [unrolled: 1-line block ×28, first 2 shown]
	s_add_i32 s34, s34, 1
	s_cmp_eq_u32 s33, s34
	s_waitcnt vmcnt(22)
	v_fma_f64 v[10:11], v[0:1], v[16:17], 0
	s_waitcnt vmcnt(2)
	v_fma_f64 v[10:11], v[56:57], v[18:19], v[10:11]
	v_fma_f64 v[10:11], v[34:35], v[20:21], v[10:11]
	buffer_load_dword v32, off, s[40:43], 0 offset:384 ; 4-byte Folded Reload
	buffer_load_dword v33, off, s[40:43], 0 offset:388 ; 4-byte Folded Reload
	;; [unrolled: 1-line block ×8, first 2 shown]
	v_fma_f64 v[10:11], v[44:45], v[22:23], v[10:11]
	buffer_load_dword v42, off, s[40:43], 0 offset:192 ; 4-byte Folded Reload
	buffer_load_dword v43, off, s[40:43], 0 offset:196 ; 4-byte Folded Reload
	;; [unrolled: 1-line block ×4, first 2 shown]
	v_fma_f64 v[10:11], v[52:53], v[24:25], v[10:11]
	s_waitcnt vmcnt(10)
	v_fma_f64 v[10:11], v[32:33], v[26:27], v[10:11]
	s_waitcnt vmcnt(6)
	;; [unrolled: 2-line block ×3, first 2 shown]
	v_fma_f64 v[0:1], v[42:43], v[30:31], v[10:11]
	v_fma_f64 v[10:11], v[16:17], v[2:3], 0
	buffer_store_dword v0, off, s[40:43], 0 offset:2024 ; 4-byte Folded Spill
	s_nop 0
	buffer_store_dword v1, off, s[40:43], 0 offset:2028 ; 4-byte Folded Spill
	v_fma_f64 v[10:11], v[18:19], v[58:59], v[10:11]
	v_fma_f64 v[10:11], v[20:21], v[36:37], v[10:11]
	v_fma_f64 v[10:11], v[22:23], v[46:47], v[10:11]
	v_fma_f64 v[10:11], v[24:25], v[54:55], v[10:11]
	v_fma_f64 v[10:11], v[26:27], v[34:35], v[10:11]
	v_fma_f64 v[10:11], v[28:29], v[50:51], v[10:11]
	s_waitcnt vmcnt(2)
	v_fma_f64 v[0:1], v[30:31], v[44:45], v[10:11]
	buffer_store_dword v0, off, s[40:43], 0 offset:1960 ; 4-byte Folded Spill
	s_nop 0
	buffer_store_dword v1, off, s[40:43], 0 offset:1964 ; 4-byte Folded Spill
	buffer_load_dword v44, off, s[40:43], 0 ; 4-byte Folded Reload
	buffer_load_dword v45, off, s[40:43], 0 offset:4 ; 4-byte Folded Reload
	buffer_load_dword v46, off, s[40:43], 0 offset:8 ; 4-byte Folded Reload
	;; [unrolled: 1-line block ×23, first 2 shown]
	s_waitcnt vmcnt(18)
	v_fma_f64 v[10:11], v[16:17], v[56:57], 0
	s_waitcnt vmcnt(14)
	v_fma_f64 v[10:11], v[18:19], v[0:1], v[10:11]
	;; [unrolled: 2-line block ×3, first 2 shown]
	v_fma_f64 v[10:11], v[22:23], v[38:39], v[10:11]
	v_fma_f64 v[10:11], v[24:25], v[12:13], v[10:11]
	v_fma_f64 v[10:11], v[26:27], v[60:61], v[10:11]
	s_waitcnt vmcnt(6)
	v_fma_f64 v[10:11], v[28:29], v[48:49], v[10:11]
	s_waitcnt vmcnt(2)
	v_fma_f64 v[48:49], v[30:31], v[52:53], v[10:11]
	v_fma_f64 v[10:11], v[16:17], v[58:59], 0
	;; [unrolled: 1-line block ×8, first 2 shown]
	s_waitcnt vmcnt(0)
	v_fma_f64 v[50:51], v[30:31], v[54:55], v[10:11]
	buffer_load_dword v52, off, s[40:43], 0 offset:480 ; 4-byte Folded Reload
	buffer_load_dword v53, off, s[40:43], 0 offset:484 ; 4-byte Folded Reload
	;; [unrolled: 1-line block ×12, first 2 shown]
	s_waitcnt vmcnt(10)
	v_fma_f64 v[12:13], v[16:17], v[52:53], 0
	s_waitcnt vmcnt(6)
	v_fma_f64 v[12:13], v[18:19], v[0:1], v[12:13]
	;; [unrolled: 2-line block ×3, first 2 shown]
	v_fma_f64 v[12:13], v[22:23], v[6:7], v[12:13]
	buffer_load_dword v4, off, s[40:43], 0 offset:448 ; 4-byte Folded Reload
	buffer_load_dword v5, off, s[40:43], 0 offset:452 ; 4-byte Folded Reload
	;; [unrolled: 1-line block ×12, first 2 shown]
	v_fma_f64 v[12:13], v[24:25], v[44:45], v[12:13]
	s_waitcnt vmcnt(10)
	v_fma_f64 v[12:13], v[26:27], v[4:5], v[12:13]
	s_waitcnt vmcnt(6)
	;; [unrolled: 2-line block ×3, first 2 shown]
	v_fma_f64 v[4:5], v[30:31], v[38:39], v[12:13]
	v_fma_f64 v[12:13], v[16:17], v[54:55], 0
	;; [unrolled: 1-line block ×6, first 2 shown]
	buffer_load_dword v44, off, s[40:43], 0 offset:464 ; 4-byte Folded Reload
	buffer_load_dword v45, off, s[40:43], 0 offset:468 ; 4-byte Folded Reload
	;; [unrolled: 1-line block ×4, first 2 shown]
	v_fma_f64 v[12:13], v[26:27], v[6:7], v[12:13]
	v_fma_f64 v[12:13], v[28:29], v[36:37], v[12:13]
	s_waitcnt vmcnt(4)
	v_fma_f64 v[32:33], v[30:31], v[40:41], v[12:13]
	buffer_load_dword v10, off, s[40:43], 0 offset:272 ; 4-byte Folded Reload
	buffer_load_dword v11, off, s[40:43], 0 offset:276 ; 4-byte Folded Reload
	buffer_load_dword v12, off, s[40:43], 0 offset:280 ; 4-byte Folded Reload
	buffer_load_dword v13, off, s[40:43], 0 offset:284 ; 4-byte Folded Reload
	buffer_load_dword v38, off, s[40:43], 0 offset:432 ; 4-byte Folded Reload
	buffer_load_dword v39, off, s[40:43], 0 offset:436 ; 4-byte Folded Reload
	buffer_load_dword v40, off, s[40:43], 0 offset:440 ; 4-byte Folded Reload
	buffer_load_dword v41, off, s[40:43], 0 offset:444 ; 4-byte Folded Reload
	buffer_load_dword v60, off, s[40:43], 0 offset:112 ; 4-byte Folded Reload
	buffer_load_dword v61, off, s[40:43], 0 offset:116 ; 4-byte Folded Reload
	buffer_load_dword v62, off, s[40:43], 0 offset:120 ; 4-byte Folded Reload
	buffer_load_dword v63, off, s[40:43], 0 offset:124 ; 4-byte Folded Reload
	buffer_load_dword v0, off, s[40:43], 0 offset:32 ; 4-byte Folded Reload
	buffer_load_dword v1, off, s[40:43], 0 offset:36 ; 4-byte Folded Reload
	buffer_load_dword v2, off, s[40:43], 0 offset:40 ; 4-byte Folded Reload
	buffer_load_dword v3, off, s[40:43], 0 offset:44 ; 4-byte Folded Reload
	s_waitcnt vmcnt(18)
	v_fma_f64 v[14:15], v[16:17], v[44:45], 0
	s_waitcnt vmcnt(14)
	v_fma_f64 v[14:15], v[18:19], v[10:11], v[14:15]
	;; [unrolled: 2-line block ×3, first 2 shown]
	buffer_load_dword v36, off, s[40:43], 0 offset:288 ; 4-byte Folded Reload
	buffer_load_dword v37, off, s[40:43], 0 offset:292 ; 4-byte Folded Reload
	;; [unrolled: 1-line block ×8, first 2 shown]
	s_waitcnt vmcnt(14)
	v_fma_f64 v[14:15], v[22:23], v[60:61], v[14:15]
	s_waitcnt vmcnt(10)
	v_fma_f64 v[14:15], v[24:25], v[0:1], v[14:15]
	;; [unrolled: 2-line block ×3, first 2 shown]
	buffer_load_dword v34, off, s[40:43], 0 offset:256 ; 4-byte Folded Reload
	buffer_load_dword v35, off, s[40:43], 0 offset:260 ; 4-byte Folded Reload
	;; [unrolled: 1-line block ×4, first 2 shown]
	s_waitcnt vmcnt(6)
	v_fma_f64 v[14:15], v[28:29], v[6:7], v[14:15]
	s_waitcnt vmcnt(2)
	v_fma_f64 v[0:1], v[30:31], v[34:35], v[14:15]
	v_fma_f64 v[14:15], v[16:17], v[46:47], 0
	v_fma_f64 v[14:15], v[18:19], v[12:13], v[14:15]
	buffer_load_dword v16, off, s[40:43], 0 offset:112 ; 4-byte Folded Reload
	buffer_load_dword v17, off, s[40:43], 0 offset:116 ; 4-byte Folded Reload
	buffer_load_dword v18, off, s[40:43], 0 offset:120 ; 4-byte Folded Reload
	buffer_load_dword v19, off, s[40:43], 0 offset:124 ; 4-byte Folded Reload
	v_fma_f64 v[14:15], v[20:21], v[40:41], v[14:15]
	s_waitcnt vmcnt(0)
	v_fma_f64 v[14:15], v[22:23], v[18:19], v[14:15]
	v_fma_f64 v[14:15], v[24:25], v[2:3], v[14:15]
	;; [unrolled: 1-line block ×4, first 2 shown]
	buffer_load_dword v2, off, s[40:43], 0 offset:1944 ; 4-byte Folded Reload
	buffer_load_dword v3, off, s[40:43], 0 offset:1948 ; 4-byte Folded Reload
	;; [unrolled: 1-line block ×6, first 2 shown]
	v_fma_f64 v[14:15], v[30:31], v[36:37], v[14:15]
	s_waitcnt vmcnt(0)
	v_fma_f64 v[16:17], v[2:3], v[6:7], v[8:9]
	buffer_load_dword v18, off, s[40:43], 0 offset:1864 ; 4-byte Folded Reload
	buffer_load_dword v19, off, s[40:43], 0 offset:1868 ; 4-byte Folded Reload
	;; [unrolled: 1-line block ×10, first 2 shown]
	s_waitcnt vmcnt(6)
	v_fma_f64 v[18:19], v[2:3], v[18:19], v[6:7]
	s_waitcnt vmcnt(4)
	v_fma_f64 v[20:21], v[2:3], v[20:21], v[48:49]
	;; [unrolled: 2-line block ×4, first 2 shown]
	buffer_load_dword v4, off, s[40:43], 0 offset:1272 ; 4-byte Folded Reload
	buffer_load_dword v5, off, s[40:43], 0 offset:1276 ; 4-byte Folded Reload
	s_waitcnt vmcnt(0)
	v_fma_f64 v[26:27], v[2:3], v[4:5], v[32:33]
	buffer_load_dword v4, off, s[40:43], 0 offset:1264 ; 4-byte Folded Reload
	buffer_load_dword v5, off, s[40:43], 0 offset:1268 ; 4-byte Folded Reload
	s_waitcnt vmcnt(0)
	v_fma_f64 v[28:29], v[2:3], v[4:5], v[0:1]
	;; [unrolled: 4-line block ×3, first 2 shown]
	s_set_gpr_idx_on s36, gpr_idx(SRC0)
	v_mov_b32_e32 v9, v17
	v_mov_b32_e32 v8, v16
	s_set_gpr_idx_off
	buffer_load_dword v0, off, s[40:43], 0 offset:1896 ; 4-byte Folded Reload
	buffer_load_dword v1, off, s[40:43], 0 offset:1900 ; 4-byte Folded Reload
	s_waitcnt vmcnt(0)
	v_add_f64 v[8:9], v[0:1], v[8:9]
	s_set_gpr_idx_on s36, gpr_idx(DST)
	v_mov_b32_e32 v16, v8
	v_mov_b32_e32 v17, v9
	s_set_gpr_idx_off
	buffer_store_dword v16, off, s[40:43], 0 offset:1168 ; 4-byte Folded Spill
	s_nop 0
	buffer_store_dword v17, off, s[40:43], 0 offset:1172 ; 4-byte Folded Spill
	buffer_store_dword v18, off, s[40:43], 0 offset:1176 ; 4-byte Folded Spill
	;; [unrolled: 1-line block ×15, first 2 shown]
	buffer_load_dword v0, off, s[40:43], 0 offset:1952 ; 4-byte Folded Reload
	buffer_load_dword v1, off, s[40:43], 0 offset:1956 ; 4-byte Folded Reload
	s_waitcnt vmcnt(0)
	v_add_f64 v[48:49], v[46:47], -v[0:1]
	buffer_store_dword v48, off, s[40:43], 0 offset:1264 ; 4-byte Folded Spill
	s_nop 0
	buffer_store_dword v49, off, s[40:43], 0 offset:1268 ; 4-byte Folded Spill
	buffer_load_dword v0, off, s[40:43], 0 offset:2032 ; 4-byte Folded Reload
	buffer_load_dword v1, off, s[40:43], 0 offset:2036 ; 4-byte Folded Reload
	s_waitcnt vmcnt(0)
	v_add_f64 v[46:47], v[44:45], -v[0:1]
	buffer_store_dword v46, off, s[40:43], 0 offset:1288 ; 4-byte Folded Spill
	s_nop 0
	buffer_store_dword v47, off, s[40:43], 0 offset:1292 ; 4-byte Folded Spill
	;; [unrolled: 7-line block ×5, first 2 shown]
	buffer_load_dword v0, off, s[40:43], 0 offset:1848 ; 4-byte Folded Reload
	buffer_load_dword v1, off, s[40:43], 0 offset:1852 ; 4-byte Folded Reload
	s_waitcnt vmcnt(0)
	v_add_f64 v[38:39], v[56:57], -v[0:1]
	buffer_load_dword v0, off, s[40:43], 0 offset:1312 ; 4-byte Folded Reload
	buffer_load_dword v1, off, s[40:43], 0 offset:1316 ; 4-byte Folded Reload
	;; [unrolled: 1-line block ×6, first 2 shown]
	s_waitcnt vmcnt(0)
	v_add_f64 v[12:13], v[8:9], -v[0:1]
	buffer_load_dword v0, off, s[40:43], 0 offset:1856 ; 4-byte Folded Reload
	buffer_load_dword v1, off, s[40:43], 0 offset:1860 ; 4-byte Folded Reload
	;; [unrolled: 1-line block ×4, first 2 shown]
	v_mov_b32_e32 v61, v13
	v_mov_b32_e32 v60, v12
	s_waitcnt vmcnt(2)
	v_add_f64 v[0:1], v[6:7], -v[0:1]
	v_mov_b32_e32 v31, v1
	v_mov_b32_e32 v30, v0
	buffer_store_dword v30, off, s[40:43], 0 offset:1312 ; 4-byte Folded Spill
	s_nop 0
	buffer_store_dword v31, off, s[40:43], 0 offset:1316 ; 4-byte Folded Spill
	s_waitcnt vmcnt(2)
	v_fma_f64 v[8:9], v[22:23], v[0:1], 0
	buffer_load_dword v44, off, s[40:43], 0 offset:1816 ; 4-byte Folded Reload
	buffer_load_dword v45, off, s[40:43], 0 offset:1820 ; 4-byte Folded Reload
	buffer_load_dword v0, off, s[40:43], 0 offset:1152 ; 4-byte Folded Reload
	buffer_load_dword v1, off, s[40:43], 0 offset:1156 ; 4-byte Folded Reload
	s_waitcnt vmcnt(0)
	v_fma_f64 v[8:9], v[44:45], v[0:1], v[8:9]
	buffer_load_dword v50, off, s[40:43], 0 offset:1832 ; 4-byte Folded Reload
	buffer_load_dword v51, off, s[40:43], 0 offset:1836 ; 4-byte Folded Reload
	buffer_load_dword v0, off, s[40:43], 0 offset:1064 ; 4-byte Folded Reload
	buffer_load_dword v1, off, s[40:43], 0 offset:1068 ; 4-byte Folded Reload
	;; [unrolled: 6-line block ×6, first 2 shown]
	buffer_load_dword v28, off, s[40:43], 0 offset:1096 ; 4-byte Folded Reload
	buffer_load_dword v29, off, s[40:43], 0 offset:1100 ; 4-byte Folded Reload
	;; [unrolled: 1-line block ×4, first 2 shown]
	s_waitcnt vmcnt(4)
	v_fma_f64 v[8:9], v[18:19], v[0:1], v[8:9]
	s_waitcnt vmcnt(0)
	v_fma_f64 v[0:1], v[20:21], v[28:29], v[8:9]
	buffer_store_dword v28, off, s[40:43], 0 offset:1096 ; 4-byte Folded Spill
	s_nop 0
	buffer_store_dword v29, off, s[40:43], 0 offset:1100 ; 4-byte Folded Spill
	buffer_store_dword v0, off, s[40:43], 0 offset:1880 ; 4-byte Folded Spill
	s_nop 0
	buffer_store_dword v1, off, s[40:43], 0 offset:1884 ; 4-byte Folded Spill
	;; [unrolled: 3-line block ×3, first 2 shown]
	buffer_load_dword v0, off, s[40:43], 0 offset:1040 ; 4-byte Folded Reload
	buffer_load_dword v1, off, s[40:43], 0 offset:1044 ; 4-byte Folded Reload
	v_fma_f64 v[8:9], v[22:23], v[12:13], 0
	s_waitcnt vmcnt(0)
	v_fma_f64 v[8:9], v[44:45], v[0:1], v[8:9]
	buffer_load_dword v0, off, s[40:43], 0 offset:1048 ; 4-byte Folded Reload
	buffer_load_dword v1, off, s[40:43], 0 offset:1052 ; 4-byte Folded Reload
	;; [unrolled: 1-line block ×4, first 2 shown]
	s_waitcnt vmcnt(2)
	v_fma_f64 v[8:9], v[50:51], v[0:1], v[8:9]
	s_waitcnt vmcnt(0)
	v_fma_f64 v[8:9], v[62:63], v[36:37], v[8:9]
	buffer_store_dword v36, off, s[40:43], 0 offset:1056 ; 4-byte Folded Spill
	s_nop 0
	buffer_store_dword v37, off, s[40:43], 0 offset:1060 ; 4-byte Folded Spill
	buffer_load_dword v0, off, s[40:43], 0 offset:656 ; 4-byte Folded Reload
	buffer_load_dword v1, off, s[40:43], 0 offset:660 ; 4-byte Folded Reload
	s_waitcnt vmcnt(0)
	v_fma_f64 v[8:9], v[2:3], v[0:1], v[8:9]
	buffer_load_dword v0, off, s[40:43], 0 offset:672 ; 4-byte Folded Reload
	buffer_load_dword v1, off, s[40:43], 0 offset:676 ; 4-byte Folded Reload
	s_waitcnt vmcnt(0)
	v_fma_f64 v[8:9], v[16:17], v[0:1], v[8:9]
	;; [unrolled: 4-line block ×4, first 2 shown]
	buffer_store_dword v0, off, s[40:43], 0 offset:1944 ; 4-byte Folded Spill
	s_nop 0
	buffer_store_dword v1, off, s[40:43], 0 offset:1948 ; 4-byte Folded Spill
	v_fma_f64 v[8:9], v[22:23], v[38:39], 0
	buffer_store_dword v38, off, s[40:43], 0 offset:1272 ; 4-byte Folded Spill
	s_nop 0
	buffer_store_dword v39, off, s[40:43], 0 offset:1276 ; 4-byte Folded Spill
	buffer_load_dword v0, off, s[40:43], 0 offset:1144 ; 4-byte Folded Reload
	buffer_load_dword v1, off, s[40:43], 0 offset:1148 ; 4-byte Folded Reload
	s_waitcnt vmcnt(0)
	v_fma_f64 v[8:9], v[44:45], v[0:1], v[8:9]
	buffer_load_dword v0, off, s[40:43], 0 offset:992 ; 4-byte Folded Reload
	buffer_load_dword v1, off, s[40:43], 0 offset:996 ; 4-byte Folded Reload
	;; [unrolled: 1-line block ×4, first 2 shown]
	s_waitcnt vmcnt(2)
	v_fma_f64 v[8:9], v[50:51], v[0:1], v[8:9]
	s_waitcnt vmcnt(0)
	v_fma_f64 v[8:9], v[62:63], v[34:35], v[8:9]
	buffer_store_dword v34, off, s[40:43], 0 offset:1024 ; 4-byte Folded Spill
	s_nop 0
	buffer_store_dword v35, off, s[40:43], 0 offset:1028 ; 4-byte Folded Spill
	buffer_load_dword v0, off, s[40:43], 0 offset:592 ; 4-byte Folded Reload
	buffer_load_dword v1, off, s[40:43], 0 offset:596 ; 4-byte Folded Reload
	s_waitcnt vmcnt(0)
	v_fma_f64 v[8:9], v[2:3], v[0:1], v[8:9]
	buffer_load_dword v0, off, s[40:43], 0 offset:608 ; 4-byte Folded Reload
	buffer_load_dword v1, off, s[40:43], 0 offset:612 ; 4-byte Folded Reload
	s_waitcnt vmcnt(0)
	v_fma_f64 v[8:9], v[16:17], v[0:1], v[8:9]
	;; [unrolled: 4-line block ×4, first 2 shown]
	buffer_store_dword v0, off, s[40:43], 0 offset:1952 ; 4-byte Folded Spill
	s_nop 0
	buffer_store_dword v1, off, s[40:43], 0 offset:1956 ; 4-byte Folded Spill
	buffer_load_dword v0, off, s[40:43], 0 offset:912 ; 4-byte Folded Reload
	s_nop 0
	buffer_load_dword v1, off, s[40:43], 0 offset:916 ; 4-byte Folded Reload
	v_fma_f64 v[8:9], v[22:23], v[4:5], 0
	s_waitcnt vmcnt(0)
	v_fma_f64 v[8:9], v[44:45], v[0:1], v[8:9]
	buffer_load_dword v0, off, s[40:43], 0 offset:944 ; 4-byte Folded Reload
	buffer_load_dword v1, off, s[40:43], 0 offset:948 ; 4-byte Folded Reload
	s_waitcnt vmcnt(0)
	v_fma_f64 v[8:9], v[50:51], v[0:1], v[8:9]
	buffer_load_dword v0, off, s[40:43], 0 offset:960 ; 4-byte Folded Reload
	buffer_load_dword v1, off, s[40:43], 0 offset:964 ; 4-byte Folded Reload
	;; [unrolled: 4-line block ×5, first 2 shown]
	buffer_load_dword v26, off, s[40:43], 0 offset:1032 ; 4-byte Folded Reload
	buffer_load_dword v27, off, s[40:43], 0 offset:1036 ; 4-byte Folded Reload
	s_waitcnt vmcnt(2)
	v_fma_f64 v[8:9], v[18:19], v[0:1], v[8:9]
	s_waitcnt vmcnt(0)
	v_fma_f64 v[0:1], v[20:21], v[26:27], v[8:9]
	buffer_store_dword v26, off, s[40:43], 0 offset:1032 ; 4-byte Folded Spill
	s_nop 0
	buffer_store_dword v27, off, s[40:43], 0 offset:1036 ; 4-byte Folded Spill
	buffer_store_dword v0, off, s[40:43], 0 offset:1960 ; 4-byte Folded Spill
	s_nop 0
	buffer_store_dword v1, off, s[40:43], 0 offset:1964 ; 4-byte Folded Spill
	buffer_load_dword v0, off, s[40:43], 0 offset:544 ; 4-byte Folded Reload
	s_nop 0
	buffer_load_dword v1, off, s[40:43], 0 offset:548 ; 4-byte Folded Reload
	v_fma_f64 v[8:9], v[22:23], v[32:33], 0
	buffer_load_dword v32, off, s[40:43], 0 offset:832 ; 4-byte Folded Reload
	buffer_load_dword v33, off, s[40:43], 0 offset:836 ; 4-byte Folded Reload
	s_waitcnt vmcnt(2)
	v_fma_f64 v[8:9], v[44:45], v[0:1], v[8:9]
	s_waitcnt vmcnt(0)
	v_fma_f64 v[8:9], v[50:51], v[32:33], v[8:9]
	buffer_store_dword v32, off, s[40:43], 0 offset:832 ; 4-byte Folded Spill
	s_nop 0
	buffer_store_dword v33, off, s[40:43], 0 offset:836 ; 4-byte Folded Spill
	buffer_load_dword v0, off, s[40:43], 0 offset:864 ; 4-byte Folded Reload
	buffer_load_dword v1, off, s[40:43], 0 offset:868 ; 4-byte Folded Reload
	s_waitcnt vmcnt(0)
	v_mov_b32_e32 v43, v1
	v_mov_b32_e32 v42, v0
	buffer_store_dword v42, off, s[40:43], 0 offset:864 ; 4-byte Folded Spill
	s_nop 0
	buffer_store_dword v43, off, s[40:43], 0 offset:868 ; 4-byte Folded Spill
	v_fma_f64 v[8:9], v[62:63], v[0:1], v[8:9]
	buffer_load_dword v0, off, s[40:43], 0 offset:896 ; 4-byte Folded Reload
	buffer_load_dword v1, off, s[40:43], 0 offset:900 ; 4-byte Folded Reload
	s_waitcnt vmcnt(0)
	v_fma_f64 v[8:9], v[2:3], v[0:1], v[8:9]
	buffer_load_dword v0, off, s[40:43], 0 offset:928 ; 4-byte Folded Reload
	buffer_load_dword v1, off, s[40:43], 0 offset:932 ; 4-byte Folded Reload
	s_waitcnt vmcnt(0)
	;; [unrolled: 4-line block ×4, first 2 shown]
	v_fma_f64 v[0:1], v[20:21], v[0:1], v[8:9]
	buffer_store_dword v0, off, s[40:43], 0 offset:1848 ; 4-byte Folded Spill
	s_nop 0
	buffer_store_dword v1, off, s[40:43], 0 offset:1852 ; 4-byte Folded Spill
	buffer_load_dword v52, off, s[40:43], 0 offset:752 ; 4-byte Folded Reload
	buffer_load_dword v53, off, s[40:43], 0 offset:756 ; 4-byte Folded Reload
	v_fma_f64 v[8:9], v[22:23], v[24:25], 0
	s_waitcnt vmcnt(0)
	v_fma_f64 v[8:9], v[44:45], v[52:53], v[8:9]
	buffer_store_dword v52, off, s[40:43], 0 offset:752 ; 4-byte Folded Spill
	s_nop 0
	buffer_store_dword v53, off, s[40:43], 0 offset:756 ; 4-byte Folded Spill
	buffer_load_dword v0, off, s[40:43], 0 offset:1120 ; 4-byte Folded Reload
	buffer_load_dword v1, off, s[40:43], 0 offset:1124 ; 4-byte Folded Reload
	;; [unrolled: 1-line block ×8, first 2 shown]
	s_waitcnt vmcnt(6)
	v_fma_f64 v[8:9], v[50:51], v[0:1], v[8:9]
	s_waitcnt vmcnt(4)
	v_fma_f64 v[8:9], v[62:63], v[6:7], v[8:9]
	;; [unrolled: 2-line block ×4, first 2 shown]
	buffer_store_dword v58, off, s[40:43], 0 offset:816 ; 4-byte Folded Spill
	s_nop 0
	buffer_store_dword v59, off, s[40:43], 0 offset:820 ; 4-byte Folded Spill
	buffer_load_dword v0, off, s[40:43], 0 offset:848 ; 4-byte Folded Reload
	buffer_load_dword v1, off, s[40:43], 0 offset:852 ; 4-byte Folded Reload
	s_waitcnt vmcnt(0)
	v_fma_f64 v[8:9], v[18:19], v[0:1], v[8:9]
	buffer_load_dword v0, off, s[40:43], 0 offset:880 ; 4-byte Folded Reload
	buffer_load_dword v1, off, s[40:43], 0 offset:884 ; 4-byte Folded Reload
	s_waitcnt vmcnt(0)
	v_fma_f64 v[0:1], v[20:21], v[0:1], v[8:9]
	v_fma_f64 v[8:9], v[22:23], v[46:47], 0
	v_mov_b32_e32 v47, v11
	v_mov_b32_e32 v46, v10
	buffer_store_dword v0, off, s[40:43], 0 offset:1856 ; 4-byte Folded Spill
	s_nop 0
	buffer_store_dword v1, off, s[40:43], 0 offset:1860 ; 4-byte Folded Spill
	buffer_store_dword v46, off, s[40:43], 0 offset:1160 ; 4-byte Folded Spill
	s_nop 0
	buffer_store_dword v47, off, s[40:43], 0 offset:1164 ; 4-byte Folded Spill
	buffer_load_dword v0, off, s[40:43], 0 offset:512 ; 4-byte Folded Reload
	buffer_load_dword v1, off, s[40:43], 0 offset:516 ; 4-byte Folded Reload
	s_waitcnt vmcnt(0)
	v_fma_f64 v[8:9], v[44:45], v[0:1], v[8:9]
	buffer_load_dword v0, off, s[40:43], 0 offset:784 ; 4-byte Folded Reload
	buffer_load_dword v1, off, s[40:43], 0 offset:788 ; 4-byte Folded Reload
	buffer_load_dword v40, off, s[40:43], 0 offset:1112 ; 4-byte Folded Reload
	buffer_load_dword v41, off, s[40:43], 0 offset:1116 ; 4-byte Folded Reload
	s_waitcnt vmcnt(2)
	v_fma_f64 v[8:9], v[50:51], v[0:1], v[8:9]
	buffer_load_dword v0, off, s[40:43], 0 offset:736 ; 4-byte Folded Reload
	buffer_load_dword v1, off, s[40:43], 0 offset:740 ; 4-byte Folded Reload
	s_waitcnt vmcnt(2)
	v_fma_f64 v[8:9], v[62:63], v[40:41], v[8:9]
	s_waitcnt vmcnt(0)
	v_fma_f64 v[8:9], v[2:3], v[0:1], v[8:9]
	buffer_load_dword v0, off, s[40:43], 0 offset:528 ; 4-byte Folded Reload
	buffer_load_dword v1, off, s[40:43], 0 offset:532 ; 4-byte Folded Reload
	s_waitcnt vmcnt(0)
	v_fma_f64 v[8:9], v[16:17], v[0:1], v[8:9]
	buffer_load_dword v0, off, s[40:43], 0 offset:768 ; 4-byte Folded Reload
	buffer_load_dword v1, off, s[40:43], 0 offset:772 ; 4-byte Folded Reload
	;; [unrolled: 1-line block ×4, first 2 shown]
	s_waitcnt vmcnt(2)
	v_fma_f64 v[8:9], v[18:19], v[0:1], v[8:9]
	s_waitcnt vmcnt(0)
	v_fma_f64 v[0:1], v[20:21], v[56:57], v[8:9]
	buffer_store_dword v56, off, s[40:43], 0 offset:800 ; 4-byte Folded Spill
	s_nop 0
	buffer_store_dword v57, off, s[40:43], 0 offset:804 ; 4-byte Folded Spill
	buffer_store_dword v0, off, s[40:43], 0 offset:1864 ; 4-byte Folded Spill
	s_nop 0
	buffer_store_dword v1, off, s[40:43], 0 offset:1868 ; 4-byte Folded Spill
	buffer_load_dword v0, off, s[40:43], 0 offset:1240 ; 4-byte Folded Reload
	s_nop 0
	buffer_load_dword v1, off, s[40:43], 0 offset:1244 ; 4-byte Folded Reload
	v_fma_f64 v[8:9], v[22:23], v[48:49], 0
	v_mov_b32_e32 v23, v7
	v_mov_b32_e32 v22, v6
	buffer_store_dword v22, off, s[40:43], 0 offset:1104 ; 4-byte Folded Spill
	s_nop 0
	buffer_store_dword v23, off, s[40:43], 0 offset:1108 ; 4-byte Folded Spill
	s_waitcnt vmcnt(2)
	v_fma_f64 v[8:9], v[44:45], v[0:1], v[8:9]
	buffer_load_dword v0, off, s[40:43], 0 offset:720 ; 4-byte Folded Reload
	buffer_load_dword v1, off, s[40:43], 0 offset:724 ; 4-byte Folded Reload
	;; [unrolled: 1-line block ×8, first 2 shown]
	s_waitcnt vmcnt(6)
	v_fma_f64 v[0:1], v[50:51], v[0:1], v[8:9]
	buffer_load_dword v50, off, s[40:43], 0 offset:1256 ; 4-byte Folded Reload
	buffer_load_dword v51, off, s[40:43], 0 offset:1260 ; 4-byte Folded Reload
	s_waitcnt vmcnt(6)
	v_fma_f64 v[0:1], v[62:63], v[48:49], v[0:1]
	s_waitcnt vmcnt(4)
	v_fma_f64 v[0:1], v[2:3], v[54:55], v[0:1]
	buffer_load_dword v2, off, s[40:43], 0 offset:1128 ; 4-byte Folded Reload
	buffer_load_dword v3, off, s[40:43], 0 offset:1132 ; 4-byte Folded Reload
	s_waitcnt vmcnt(4)
	v_fma_f64 v[0:1], v[16:17], v[44:45], v[0:1]
	s_waitcnt vmcnt(2)
	v_fma_f64 v[0:1], v[18:19], v[50:51], v[0:1]
	;; [unrolled: 2-line block ×3, first 2 shown]
	buffer_store_dword v0, off, s[40:43], 0 offset:1488 ; 4-byte Folded Spill
	s_nop 0
	buffer_store_dword v1, off, s[40:43], 0 offset:1492 ; 4-byte Folded Spill
	buffer_load_dword v8, off, s[40:43], 0 offset:1464 ; 4-byte Folded Reload
	buffer_load_dword v9, off, s[40:43], 0 offset:1468 ; 4-byte Folded Reload
	;; [unrolled: 1-line block ×6, first 2 shown]
	s_waitcnt vmcnt(4)
	v_fma_f64 v[0:1], v[8:9], v[30:31], 0
	s_waitcnt vmcnt(0)
	v_fma_f64 v[0:1], v[2:3], v[4:5], v[0:1]
	buffer_load_dword v4, off, s[40:43], 0 offset:1800 ; 4-byte Folded Reload
	buffer_load_dword v5, off, s[40:43], 0 offset:1804 ; 4-byte Folded Reload
	;; [unrolled: 1-line block ×20, first 2 shown]
	s_waitcnt vmcnt(16)
	v_fma_f64 v[0:1], v[4:5], v[18:19], v[0:1]
	s_waitcnt vmcnt(12)
	v_fma_f64 v[0:1], v[6:7], v[20:21], v[0:1]
	;; [unrolled: 2-line block ×5, first 2 shown]
	buffer_load_dword v16, off, s[40:43], 0 offset:2008 ; 4-byte Folded Reload
	buffer_load_dword v17, off, s[40:43], 0 offset:2012 ; 4-byte Folded Reload
	s_waitcnt vmcnt(0)
	v_fma_f64 v[0:1], v[16:17], v[28:29], v[0:1]
	buffer_store_dword v0, off, s[40:43], 0 offset:1496 ; 4-byte Folded Spill
	s_nop 0
	buffer_store_dword v1, off, s[40:43], 0 offset:1500 ; 4-byte Folded Spill
	buffer_load_dword v28, off, s[40:43], 0 offset:1040 ; 4-byte Folded Reload
	buffer_load_dword v29, off, s[40:43], 0 offset:1044 ; 4-byte Folded Reload
	v_fma_f64 v[0:1], v[8:9], v[60:61], 0
	s_waitcnt vmcnt(0)
	v_fma_f64 v[0:1], v[2:3], v[28:29], v[0:1]
	buffer_load_dword v28, off, s[40:43], 0 offset:1048 ; 4-byte Folded Reload
	buffer_load_dword v29, off, s[40:43], 0 offset:1052 ; 4-byte Folded Reload
	s_waitcnt vmcnt(0)
	v_fma_f64 v[0:1], v[4:5], v[28:29], v[0:1]
	buffer_load_dword v28, off, s[40:43], 0 offset:656 ; 4-byte Folded Reload
	buffer_load_dword v29, off, s[40:43], 0 offset:660 ; 4-byte Folded Reload
	v_fma_f64 v[0:1], v[6:7], v[36:37], v[0:1]
	s_waitcnt vmcnt(0)
	v_fma_f64 v[0:1], v[10:11], v[28:29], v[0:1]
	buffer_load_dword v28, off, s[40:43], 0 offset:672 ; 4-byte Folded Reload
	buffer_load_dword v29, off, s[40:43], 0 offset:676 ; 4-byte Folded Reload
	s_waitcnt vmcnt(0)
	v_fma_f64 v[0:1], v[12:13], v[28:29], v[0:1]
	buffer_load_dword v28, off, s[40:43], 0 offset:688 ; 4-byte Folded Reload
	buffer_load_dword v29, off, s[40:43], 0 offset:692 ; 4-byte Folded Reload
	;; [unrolled: 4-line block ×3, first 2 shown]
	s_waitcnt vmcnt(0)
	v_fma_f64 v[0:1], v[16:17], v[28:29], v[0:1]
	buffer_store_dword v0, off, s[40:43], 0 offset:1504 ; 4-byte Folded Spill
	s_nop 0
	buffer_store_dword v1, off, s[40:43], 0 offset:1508 ; 4-byte Folded Spill
	buffer_load_dword v36, off, s[40:43], 0 offset:1144 ; 4-byte Folded Reload
	buffer_load_dword v37, off, s[40:43], 0 offset:1148 ; 4-byte Folded Reload
	;; [unrolled: 1-line block ×6, first 2 shown]
	v_fma_f64 v[0:1], v[8:9], v[38:39], 0
	s_waitcnt vmcnt(4)
	v_fma_f64 v[0:1], v[2:3], v[36:37], v[0:1]
	s_waitcnt vmcnt(2)
	v_fma_f64 v[0:1], v[4:5], v[60:61], v[0:1]
	v_fma_f64 v[0:1], v[6:7], v[34:35], v[0:1]
	s_waitcnt vmcnt(0)
	v_fma_f64 v[0:1], v[10:11], v[28:29], v[0:1]
	buffer_load_dword v28, off, s[40:43], 0 offset:608 ; 4-byte Folded Reload
	buffer_load_dword v29, off, s[40:43], 0 offset:612 ; 4-byte Folded Reload
	s_waitcnt vmcnt(0)
	v_fma_f64 v[0:1], v[12:13], v[28:29], v[0:1]
	buffer_load_dword v28, off, s[40:43], 0 offset:624 ; 4-byte Folded Reload
	buffer_load_dword v29, off, s[40:43], 0 offset:628 ; 4-byte Folded Reload
	;; [unrolled: 4-line block ×3, first 2 shown]
	s_waitcnt vmcnt(0)
	v_fma_f64 v[0:1], v[16:17], v[28:29], v[0:1]
	buffer_store_dword v0, off, s[40:43], 0 offset:1512 ; 4-byte Folded Spill
	s_nop 0
	buffer_store_dword v1, off, s[40:43], 0 offset:1516 ; 4-byte Folded Spill
	buffer_load_dword v0, off, s[40:43], 0 offset:1232 ; 4-byte Folded Reload
	s_nop 0
	buffer_load_dword v1, off, s[40:43], 0 offset:1236 ; 4-byte Folded Reload
	buffer_load_dword v28, off, s[40:43], 0 offset:912 ; 4-byte Folded Reload
	;; [unrolled: 1-line block ×7, first 2 shown]
	s_waitcnt vmcnt(6)
	v_fma_f64 v[0:1], v[8:9], v[0:1], 0
	s_waitcnt vmcnt(4)
	v_fma_f64 v[0:1], v[2:3], v[28:29], v[0:1]
	;; [unrolled: 2-line block ×4, first 2 shown]
	buffer_load_dword v34, off, s[40:43], 0 offset:576 ; 4-byte Folded Reload
	buffer_load_dword v35, off, s[40:43], 0 offset:580 ; 4-byte Folded Reload
	buffer_load_dword v38, off, s[40:43], 0 offset:976 ; 4-byte Folded Reload
	buffer_load_dword v39, off, s[40:43], 0 offset:980 ; 4-byte Folded Reload
	s_waitcnt vmcnt(2)
	v_fma_f64 v[0:1], v[10:11], v[34:35], v[0:1]
	buffer_load_dword v34, off, s[40:43], 0 offset:1008 ; 4-byte Folded Reload
	buffer_load_dword v35, off, s[40:43], 0 offset:1012 ; 4-byte Folded Reload
	s_waitcnt vmcnt(2)
	v_fma_f64 v[0:1], v[12:13], v[38:39], v[0:1]
	s_waitcnt vmcnt(0)
	v_fma_f64 v[0:1], v[14:15], v[34:35], v[0:1]
	v_fma_f64 v[0:1], v[16:17], v[26:27], v[0:1]
	buffer_store_dword v0, off, s[40:43], 0 offset:1816 ; 4-byte Folded Spill
	s_nop 0
	buffer_store_dword v1, off, s[40:43], 0 offset:1820 ; 4-byte Folded Spill
	buffer_load_dword v0, off, s[40:43], 0 offset:1304 ; 4-byte Folded Reload
	s_nop 0
	buffer_load_dword v1, off, s[40:43], 0 offset:1308 ; 4-byte Folded Reload
	buffer_load_dword v26, off, s[40:43], 0 offset:544 ; 4-byte Folded Reload
	;; [unrolled: 1-line block ×3, first 2 shown]
	s_waitcnt vmcnt(2)
	v_fma_f64 v[0:1], v[8:9], v[0:1], 0
	s_waitcnt vmcnt(0)
	v_fma_f64 v[0:1], v[2:3], v[26:27], v[0:1]
	v_fma_f64 v[0:1], v[4:5], v[32:33], v[0:1]
	buffer_load_dword v32, off, s[40:43], 0 offset:896 ; 4-byte Folded Reload
	buffer_load_dword v33, off, s[40:43], 0 offset:900 ; 4-byte Folded Reload
	buffer_load_dword v34, off, s[40:43], 0 offset:928 ; 4-byte Folded Reload
	buffer_load_dword v35, off, s[40:43], 0 offset:932 ; 4-byte Folded Reload
	buffer_load_dword v26, off, s[40:43], 0 offset:560 ; 4-byte Folded Reload
	buffer_load_dword v27, off, s[40:43], 0 offset:564 ; 4-byte Folded Reload
	v_fma_f64 v[0:1], v[6:7], v[42:43], v[0:1]
	s_waitcnt vmcnt(4)
	v_fma_f64 v[0:1], v[10:11], v[32:33], v[0:1]
	s_waitcnt vmcnt(2)
	;; [unrolled: 2-line block ×3, first 2 shown]
	v_fma_f64 v[0:1], v[14:15], v[26:27], v[0:1]
	buffer_load_dword v26, off, s[40:43], 0 offset:1136 ; 4-byte Folded Reload
	buffer_load_dword v27, off, s[40:43], 0 offset:1140 ; 4-byte Folded Reload
	s_waitcnt vmcnt(0)
	v_fma_f64 v[0:1], v[16:17], v[26:27], v[0:1]
	buffer_store_dword v0, off, s[40:43], 0 offset:1832 ; 4-byte Folded Spill
	s_nop 0
	buffer_store_dword v1, off, s[40:43], 0 offset:1836 ; 4-byte Folded Spill
	buffer_load_dword v0, off, s[40:43], 0 offset:1296 ; 4-byte Folded Reload
	s_nop 0
	buffer_load_dword v1, off, s[40:43], 0 offset:1300 ; 4-byte Folded Reload
	buffer_load_dword v42, off, s[40:43], 0 offset:1120 ; 4-byte Folded Reload
	;; [unrolled: 1-line block ×3, first 2 shown]
	s_waitcnt vmcnt(2)
	v_fma_f64 v[0:1], v[8:9], v[0:1], 0
	v_fma_f64 v[0:1], v[2:3], v[52:53], v[0:1]
	buffer_load_dword v52, off, s[40:43], 0 offset:848 ; 4-byte Folded Reload
	buffer_load_dword v53, off, s[40:43], 0 offset:852 ; 4-byte Folded Reload
	s_waitcnt vmcnt(2)
	v_fma_f64 v[0:1], v[4:5], v[42:43], v[0:1]
	v_fma_f64 v[0:1], v[6:7], v[22:23], v[0:1]
	;; [unrolled: 1-line block ×4, first 2 shown]
	buffer_load_dword v58, off, s[40:43], 0 offset:880 ; 4-byte Folded Reload
	buffer_load_dword v59, off, s[40:43], 0 offset:884 ; 4-byte Folded Reload
	s_waitcnt vmcnt(2)
	v_fma_f64 v[0:1], v[14:15], v[52:53], v[0:1]
	s_waitcnt vmcnt(0)
	v_fma_f64 v[0:1], v[16:17], v[58:59], v[0:1]
	buffer_store_dword v0, off, s[40:43], 0 offset:1872 ; 4-byte Folded Spill
	s_nop 0
	buffer_store_dword v1, off, s[40:43], 0 offset:1876 ; 4-byte Folded Spill
	buffer_load_dword v0, off, s[40:43], 0 offset:1288 ; 4-byte Folded Reload
	s_nop 0
	buffer_load_dword v1, off, s[40:43], 0 offset:1292 ; 4-byte Folded Reload
	buffer_load_dword v52, off, s[40:43], 0 offset:512 ; 4-byte Folded Reload
	;; [unrolled: 1-line block ×3, first 2 shown]
	s_waitcnt vmcnt(2)
	v_fma_f64 v[0:1], v[8:9], v[0:1], 0
	s_waitcnt vmcnt(0)
	v_fma_f64 v[0:1], v[2:3], v[52:53], v[0:1]
	buffer_load_dword v52, off, s[40:43], 0 offset:784 ; 4-byte Folded Reload
	buffer_load_dword v53, off, s[40:43], 0 offset:788 ; 4-byte Folded Reload
	buffer_load_dword v22, off, s[40:43], 0 offset:736 ; 4-byte Folded Reload
	buffer_load_dword v23, off, s[40:43], 0 offset:740 ; 4-byte Folded Reload
	s_waitcnt vmcnt(2)
	v_fma_f64 v[0:1], v[4:5], v[52:53], v[0:1]
	v_fma_f64 v[0:1], v[6:7], v[40:41], v[0:1]
	s_waitcnt vmcnt(0)
	v_fma_f64 v[0:1], v[10:11], v[22:23], v[0:1]
	buffer_load_dword v22, off, s[40:43], 0 offset:528 ; 4-byte Folded Reload
	buffer_load_dword v23, off, s[40:43], 0 offset:532 ; 4-byte Folded Reload
	;; [unrolled: 1-line block ×4, first 2 shown]
	s_waitcnt vmcnt(2)
	v_fma_f64 v[0:1], v[12:13], v[22:23], v[0:1]
	s_waitcnt vmcnt(0)
	v_fma_f64 v[0:1], v[14:15], v[40:41], v[0:1]
	v_fma_f64 v[0:1], v[16:17], v[56:57], v[0:1]
	buffer_store_dword v0, off, s[40:43], 0 offset:1840 ; 4-byte Folded Spill
	s_nop 0
	buffer_store_dword v1, off, s[40:43], 0 offset:1844 ; 4-byte Folded Spill
	buffer_load_dword v0, off, s[40:43], 0 offset:1264 ; 4-byte Folded Reload
	s_nop 0
	buffer_load_dword v1, off, s[40:43], 0 offset:1268 ; 4-byte Folded Reload
	buffer_load_dword v46, off, s[40:43], 0 offset:1240 ; 4-byte Folded Reload
	;; [unrolled: 1-line block ×5, first 2 shown]
	s_waitcnt vmcnt(4)
	v_fma_f64 v[0:1], v[8:9], v[0:1], 0
	s_waitcnt vmcnt(2)
	v_fma_f64 v[0:1], v[2:3], v[46:47], v[0:1]
	;; [unrolled: 2-line block ×3, first 2 shown]
	v_fma_f64 v[0:1], v[6:7], v[48:49], v[0:1]
	buffer_load_dword v6, off, s[40:43], 0 offset:1128 ; 4-byte Folded Reload
	buffer_load_dword v7, off, s[40:43], 0 offset:1132 ; 4-byte Folded Reload
	v_fma_f64 v[0:1], v[10:11], v[54:55], v[0:1]
	v_fma_f64 v[0:1], v[12:13], v[44:45], v[0:1]
	;; [unrolled: 1-line block ×3, first 2 shown]
	s_waitcnt vmcnt(0)
	v_fma_f64 v[0:1], v[16:17], v[6:7], v[0:1]
	buffer_store_dword v0, off, s[40:43], 0 offset:1464 ; 4-byte Folded Spill
	s_nop 0
	buffer_store_dword v1, off, s[40:43], 0 offset:1468 ; 4-byte Folded Spill
	buffer_load_dword v2, off, s[40:43], 0 offset:1456 ; 4-byte Folded Reload
	buffer_load_dword v3, off, s[40:43], 0 offset:1460 ; 4-byte Folded Reload
	;; [unrolled: 1-line block ×20, first 2 shown]
	s_waitcnt vmcnt(16)
	v_fma_f64 v[0:1], v[2:3], v[48:49], 0
	s_waitcnt vmcnt(12)
	v_fma_f64 v[0:1], v[8:9], v[50:51], v[0:1]
	;; [unrolled: 2-line block ×6, first 2 shown]
	buffer_load_dword v56, off, s[40:43], 0 offset:1976 ; 4-byte Folded Reload
	buffer_load_dword v57, off, s[40:43], 0 offset:1980 ; 4-byte Folded Reload
	;; [unrolled: 1-line block ×4, first 2 shown]
	s_waitcnt vmcnt(4)
	v_fma_f64 v[0:1], v[54:55], v[12:13], v[0:1]
	s_waitcnt vmcnt(0)
	v_fma_f64 v[0:1], v[56:57], v[24:25], v[0:1]
	buffer_store_dword v0, off, s[40:43], 0 offset:1472 ; 4-byte Folded Spill
	s_nop 0
	buffer_store_dword v1, off, s[40:43], 0 offset:1476 ; 4-byte Folded Spill
	buffer_load_dword v0, off, s[40:43], 0 offset:1280 ; 4-byte Folded Reload
	s_nop 0
	buffer_load_dword v1, off, s[40:43], 0 offset:1284 ; 4-byte Folded Reload
	buffer_load_dword v14, off, s[40:43], 0 offset:1040 ; 4-byte Folded Reload
	;; [unrolled: 1-line block ×5, first 2 shown]
	s_waitcnt vmcnt(4)
	v_fma_f64 v[0:1], v[2:3], v[0:1], 0
	s_waitcnt vmcnt(2)
	v_fma_f64 v[0:1], v[8:9], v[14:15], v[0:1]
	;; [unrolled: 2-line block ×3, first 2 shown]
	buffer_load_dword v16, off, s[40:43], 0 offset:1056 ; 4-byte Folded Reload
	buffer_load_dword v17, off, s[40:43], 0 offset:1060 ; 4-byte Folded Reload
	s_waitcnt vmcnt(0)
	v_fma_f64 v[0:1], v[40:41], v[16:17], v[0:1]
	buffer_load_dword v16, off, s[40:43], 0 offset:656 ; 4-byte Folded Reload
	buffer_load_dword v17, off, s[40:43], 0 offset:660 ; 4-byte Folded Reload
	s_waitcnt vmcnt(0)
	v_fma_f64 v[0:1], v[44:45], v[16:17], v[0:1]
	;; [unrolled: 4-line block ×5, first 2 shown]
	buffer_store_dword v0, off, s[40:43], 0 offset:1480 ; 4-byte Folded Spill
	s_nop 0
	buffer_store_dword v1, off, s[40:43], 0 offset:1484 ; 4-byte Folded Spill
	buffer_load_dword v0, off, s[40:43], 0 offset:1272 ; 4-byte Folded Reload
	s_nop 0
	buffer_load_dword v1, off, s[40:43], 0 offset:1276 ; 4-byte Folded Reload
	buffer_load_dword v16, off, s[40:43], 0 offset:1024 ; 4-byte Folded Reload
	buffer_load_dword v17, off, s[40:43], 0 offset:1028 ; 4-byte Folded Reload
	s_waitcnt vmcnt(2)
	v_fma_f64 v[0:1], v[2:3], v[0:1], 0
	v_fma_f64 v[0:1], v[8:9], v[36:37], v[0:1]
	;; [unrolled: 1-line block ×3, first 2 shown]
	s_waitcnt vmcnt(0)
	v_fma_f64 v[0:1], v[40:41], v[16:17], v[0:1]
	buffer_load_dword v16, off, s[40:43], 0 offset:592 ; 4-byte Folded Reload
	buffer_load_dword v17, off, s[40:43], 0 offset:596 ; 4-byte Folded Reload
	s_waitcnt vmcnt(0)
	v_fma_f64 v[0:1], v[44:45], v[16:17], v[0:1]
	buffer_load_dword v16, off, s[40:43], 0 offset:608 ; 4-byte Folded Reload
	buffer_load_dword v17, off, s[40:43], 0 offset:612 ; 4-byte Folded Reload
	;; [unrolled: 4-line block ×4, first 2 shown]
	s_waitcnt vmcnt(0)
	v_fma_f64 v[0:1], v[56:57], v[16:17], v[0:1]
	buffer_store_dword v0, off, s[40:43], 0 offset:1784 ; 4-byte Folded Spill
	s_nop 0
	buffer_store_dword v1, off, s[40:43], 0 offset:1788 ; 4-byte Folded Spill
	buffer_load_dword v0, off, s[40:43], 0 offset:1232 ; 4-byte Folded Reload
	s_nop 0
	buffer_load_dword v1, off, s[40:43], 0 offset:1236 ; 4-byte Folded Reload
	buffer_load_dword v16, off, s[40:43], 0 offset:960 ; 4-byte Folded Reload
	;; [unrolled: 1-line block ×3, first 2 shown]
	s_waitcnt vmcnt(2)
	v_fma_f64 v[0:1], v[2:3], v[0:1], 0
	v_fma_f64 v[0:1], v[8:9], v[28:29], v[0:1]
	;; [unrolled: 1-line block ×3, first 2 shown]
	s_waitcnt vmcnt(0)
	v_fma_f64 v[0:1], v[40:41], v[16:17], v[0:1]
	buffer_load_dword v16, off, s[40:43], 0 offset:576 ; 4-byte Folded Reload
	buffer_load_dword v17, off, s[40:43], 0 offset:580 ; 4-byte Folded Reload
	s_waitcnt vmcnt(0)
	v_fma_f64 v[0:1], v[44:45], v[16:17], v[0:1]
	buffer_load_dword v16, off, s[40:43], 0 offset:1008 ; 4-byte Folded Reload
	buffer_load_dword v17, off, s[40:43], 0 offset:1012 ; 4-byte Folded Reload
	v_fma_f64 v[0:1], v[10:11], v[38:39], v[0:1]
	s_waitcnt vmcnt(0)
	v_fma_f64 v[0:1], v[54:55], v[16:17], v[0:1]
	buffer_load_dword v16, off, s[40:43], 0 offset:1032 ; 4-byte Folded Reload
	buffer_load_dword v17, off, s[40:43], 0 offset:1036 ; 4-byte Folded Reload
	s_waitcnt vmcnt(0)
	v_fma_f64 v[0:1], v[56:57], v[16:17], v[0:1]
	buffer_store_dword v0, off, s[40:43], 0 offset:1800 ; 4-byte Folded Spill
	s_nop 0
	buffer_store_dword v1, off, s[40:43], 0 offset:1804 ; 4-byte Folded Spill
	buffer_load_dword v22, off, s[40:43], 0 offset:1304 ; 4-byte Folded Reload
	buffer_load_dword v23, off, s[40:43], 0 offset:1308 ; 4-byte Folded Reload
	;; [unrolled: 1-line block ×4, first 2 shown]
	s_waitcnt vmcnt(2)
	v_fma_f64 v[0:1], v[2:3], v[22:23], 0
	s_waitcnt vmcnt(0)
	v_fma_f64 v[0:1], v[8:9], v[16:17], v[0:1]
	buffer_load_dword v16, off, s[40:43], 0 offset:832 ; 4-byte Folded Reload
	buffer_load_dword v17, off, s[40:43], 0 offset:836 ; 4-byte Folded Reload
	s_waitcnt vmcnt(0)
	v_fma_f64 v[0:1], v[4:5], v[16:17], v[0:1]
	buffer_load_dword v16, off, s[40:43], 0 offset:864 ; 4-byte Folded Reload
	buffer_load_dword v17, off, s[40:43], 0 offset:868 ; 4-byte Folded Reload
	;; [unrolled: 4-line block ×3, first 2 shown]
	v_fma_f64 v[0:1], v[44:45], v[32:33], v[0:1]
	v_fma_f64 v[0:1], v[10:11], v[34:35], v[0:1]
	s_waitcnt vmcnt(0)
	v_fma_f64 v[0:1], v[54:55], v[16:17], v[0:1]
	v_fma_f64 v[0:1], v[56:57], v[26:27], v[0:1]
	buffer_store_dword v0, off, s[40:43], 0 offset:1808 ; 4-byte Folded Spill
	s_nop 0
	buffer_store_dword v1, off, s[40:43], 0 offset:1812 ; 4-byte Folded Spill
	buffer_load_dword v20, off, s[40:43], 0 offset:1296 ; 4-byte Folded Reload
	buffer_load_dword v21, off, s[40:43], 0 offset:1300 ; 4-byte Folded Reload
	buffer_load_dword v16, off, s[40:43], 0 offset:752 ; 4-byte Folded Reload
	buffer_load_dword v17, off, s[40:43], 0 offset:756 ; 4-byte Folded Reload
	v_mov_b32_e32 v26, v30
	v_mov_b32_e32 v27, v31
	s_waitcnt vmcnt(2)
	v_fma_f64 v[0:1], v[2:3], v[20:21], 0
	s_waitcnt vmcnt(0)
	v_fma_f64 v[0:1], v[8:9], v[16:17], v[0:1]
	buffer_load_dword v16, off, s[40:43], 0 offset:1104 ; 4-byte Folded Reload
	buffer_load_dword v17, off, s[40:43], 0 offset:1108 ; 4-byte Folded Reload
	v_fma_f64 v[0:1], v[4:5], v[42:43], v[0:1]
	buffer_load_dword v42, off, s[40:43], 0 offset:1160 ; 4-byte Folded Reload
	buffer_load_dword v43, off, s[40:43], 0 offset:1164 ; 4-byte Folded Reload
	s_waitcnt vmcnt(2)
	v_fma_f64 v[0:1], v[40:41], v[16:17], v[0:1]
	buffer_load_dword v16, off, s[40:43], 0 offset:816 ; 4-byte Folded Reload
	buffer_load_dword v17, off, s[40:43], 0 offset:820 ; 4-byte Folded Reload
	s_waitcnt vmcnt(2)
	v_fma_f64 v[0:1], v[44:45], v[42:43], v[0:1]
	s_waitcnt vmcnt(0)
	v_fma_f64 v[0:1], v[10:11], v[16:17], v[0:1]
	buffer_load_dword v16, off, s[40:43], 0 offset:848 ; 4-byte Folded Reload
	buffer_load_dword v17, off, s[40:43], 0 offset:852 ; 4-byte Folded Reload
	s_waitcnt vmcnt(0)
	v_fma_f64 v[0:1], v[54:55], v[16:17], v[0:1]
	v_fma_f64 v[0:1], v[56:57], v[58:59], v[0:1]
	buffer_store_dword v0, off, s[40:43], 0 offset:1824 ; 4-byte Folded Spill
	s_nop 0
	buffer_store_dword v1, off, s[40:43], 0 offset:1828 ; 4-byte Folded Spill
	buffer_load_dword v18, off, s[40:43], 0 offset:1288 ; 4-byte Folded Reload
	buffer_load_dword v19, off, s[40:43], 0 offset:1292 ; 4-byte Folded Reload
	;; [unrolled: 1-line block ×4, first 2 shown]
	s_waitcnt vmcnt(2)
	v_fma_f64 v[0:1], v[2:3], v[18:19], 0
	s_waitcnt vmcnt(0)
	v_fma_f64 v[0:1], v[8:9], v[16:17], v[0:1]
	buffer_load_dword v16, off, s[40:43], 0 offset:784 ; 4-byte Folded Reload
	buffer_load_dword v17, off, s[40:43], 0 offset:788 ; 4-byte Folded Reload
	s_waitcnt vmcnt(0)
	v_fma_f64 v[0:1], v[4:5], v[16:17], v[0:1]
	buffer_load_dword v16, off, s[40:43], 0 offset:1112 ; 4-byte Folded Reload
	buffer_load_dword v17, off, s[40:43], 0 offset:1116 ; 4-byte Folded Reload
	;; [unrolled: 4-line block ×6, first 2 shown]
	s_waitcnt vmcnt(0)
	v_fma_f64 v[0:1], v[56:57], v[16:17], v[0:1]
	buffer_store_dword v0, off, s[40:43], 0 offset:1888 ; 4-byte Folded Spill
	s_nop 0
	buffer_store_dword v1, off, s[40:43], 0 offset:1892 ; 4-byte Folded Spill
	buffer_load_dword v0, off, s[40:43], 0 offset:1264 ; 4-byte Folded Reload
	s_nop 0
	buffer_load_dword v1, off, s[40:43], 0 offset:1268 ; 4-byte Folded Reload
	s_waitcnt vmcnt(0)
	v_fma_f64 v[0:1], v[2:3], v[0:1], 0
	buffer_load_dword v2, off, s[40:43], 0 offset:1328 ; 4-byte Folded Reload
	buffer_load_dword v3, off, s[40:43], 0 offset:1332 ; 4-byte Folded Reload
	v_fma_f64 v[0:1], v[8:9], v[46:47], v[0:1]
	v_fma_f64 v[0:1], v[4:5], v[52:53], v[0:1]
	s_waitcnt vmcnt(0)
	v_fma_f64 v[0:1], v[40:41], v[2:3], v[0:1]
	buffer_load_dword v2, off, s[40:43], 0 offset:1320 ; 4-byte Folded Reload
	buffer_load_dword v3, off, s[40:43], 0 offset:1324 ; 4-byte Folded Reload
	;; [unrolled: 1-line block ×6, first 2 shown]
	s_waitcnt vmcnt(4)
	v_fma_f64 v[0:1], v[44:45], v[2:3], v[0:1]
	s_waitcnt vmcnt(2)
	v_fma_f64 v[0:1], v[10:11], v[32:33], v[0:1]
	;; [unrolled: 2-line block ×3, first 2 shown]
	v_fma_f64 v[0:1], v[56:57], v[6:7], v[0:1]
	buffer_store_dword v0, off, s[40:43], 0 offset:1456 ; 4-byte Folded Spill
	s_nop 0
	buffer_store_dword v1, off, s[40:43], 0 offset:1460 ; 4-byte Folded Spill
	buffer_load_dword v2, off, s[40:43], 0 offset:1448 ; 4-byte Folded Reload
	buffer_load_dword v3, off, s[40:43], 0 offset:1452 ; 4-byte Folded Reload
	;; [unrolled: 1-line block ×20, first 2 shown]
	s_waitcnt vmcnt(18)
	v_fma_f64 v[0:1], v[2:3], v[48:49], 0
	s_waitcnt vmcnt(16)
	v_fma_f64 v[0:1], v[6:7], v[50:51], v[0:1]
	;; [unrolled: 2-line block ×7, first 2 shown]
	buffer_load_dword v12, off, s[40:43], 0 offset:1992 ; 4-byte Folded Reload
	buffer_load_dword v13, off, s[40:43], 0 offset:1996 ; 4-byte Folded Reload
	s_waitcnt vmcnt(0)
	v_fma_f64 v[0:1], v[12:13], v[24:25], v[0:1]
	buffer_store_dword v0, off, s[40:43], 0 offset:1736 ; 4-byte Folded Spill
	s_nop 0
	buffer_store_dword v1, off, s[40:43], 0 offset:1740 ; 4-byte Folded Spill
	buffer_load_dword v0, off, s[40:43], 0 offset:1280 ; 4-byte Folded Reload
	s_nop 0
	buffer_load_dword v1, off, s[40:43], 0 offset:1284 ; 4-byte Folded Reload
	s_waitcnt vmcnt(0)
	v_fma_f64 v[0:1], v[2:3], v[0:1], 0
	v_fma_f64 v[0:1], v[6:7], v[14:15], v[0:1]
	buffer_load_dword v14, off, s[40:43], 0 offset:1048 ; 4-byte Folded Reload
	buffer_load_dword v15, off, s[40:43], 0 offset:1052 ; 4-byte Folded Reload
	;; [unrolled: 1-line block ×10, first 2 shown]
	s_waitcnt vmcnt(8)
	v_fma_f64 v[0:1], v[8:9], v[14:15], v[0:1]
	s_waitcnt vmcnt(6)
	v_fma_f64 v[0:1], v[10:11], v[24:25], v[0:1]
	buffer_load_dword v24, off, s[40:43], 0 offset:704 ; 4-byte Folded Reload
	buffer_load_dword v25, off, s[40:43], 0 offset:708 ; 4-byte Folded Reload
	s_waitcnt vmcnt(6)
	v_fma_f64 v[0:1], v[28:29], v[36:37], v[0:1]
	s_waitcnt vmcnt(4)
	v_fma_f64 v[0:1], v[60:61], v[38:39], v[0:1]
	;; [unrolled: 2-line block ×4, first 2 shown]
	buffer_store_dword v0, off, s[40:43], 0 offset:1752 ; 4-byte Folded Spill
	s_nop 0
	buffer_store_dword v1, off, s[40:43], 0 offset:1756 ; 4-byte Folded Spill
	buffer_load_dword v0, off, s[40:43], 0 offset:1272 ; 4-byte Folded Reload
	s_nop 0
	buffer_load_dword v1, off, s[40:43], 0 offset:1276 ; 4-byte Folded Reload
	buffer_load_dword v34, off, s[40:43], 0 offset:1144 ; 4-byte Folded Reload
	;; [unrolled: 1-line block ×3, first 2 shown]
	s_waitcnt vmcnt(2)
	v_fma_f64 v[0:1], v[2:3], v[0:1], 0
	s_waitcnt vmcnt(0)
	v_fma_f64 v[0:1], v[6:7], v[34:35], v[0:1]
	buffer_load_dword v34, off, s[40:43], 0 offset:992 ; 4-byte Folded Reload
	buffer_load_dword v35, off, s[40:43], 0 offset:996 ; 4-byte Folded Reload
	s_waitcnt vmcnt(0)
	v_fma_f64 v[0:1], v[8:9], v[34:35], v[0:1]
	buffer_load_dword v34, off, s[40:43], 0 offset:1024 ; 4-byte Folded Reload
	buffer_load_dword v35, off, s[40:43], 0 offset:1028 ; 4-byte Folded Reload
	;; [unrolled: 1-line block ×8, first 2 shown]
	s_waitcnt vmcnt(6)
	v_fma_f64 v[0:1], v[10:11], v[34:35], v[0:1]
	buffer_load_dword v34, off, s[40:43], 0 offset:640 ; 4-byte Folded Reload
	buffer_load_dword v35, off, s[40:43], 0 offset:644 ; 4-byte Folded Reload
	s_waitcnt vmcnt(6)
	v_fma_f64 v[0:1], v[28:29], v[54:55], v[0:1]
	s_waitcnt vmcnt(4)
	v_fma_f64 v[0:1], v[60:61], v[56:57], v[0:1]
	;; [unrolled: 2-line block ×4, first 2 shown]
	buffer_store_dword v0, off, s[40:43], 0 offset:1760 ; 4-byte Folded Spill
	s_nop 0
	buffer_store_dword v1, off, s[40:43], 0 offset:1764 ; 4-byte Folded Spill
	buffer_load_dword v0, off, s[40:43], 0 offset:1232 ; 4-byte Folded Reload
	s_nop 0
	buffer_load_dword v1, off, s[40:43], 0 offset:1236 ; 4-byte Folded Reload
	buffer_load_dword v44, off, s[40:43], 0 offset:912 ; 4-byte Folded Reload
	;; [unrolled: 1-line block ×3, first 2 shown]
	s_waitcnt vmcnt(2)
	v_fma_f64 v[0:1], v[2:3], v[0:1], 0
	s_waitcnt vmcnt(0)
	v_fma_f64 v[0:1], v[6:7], v[44:45], v[0:1]
	buffer_load_dword v44, off, s[40:43], 0 offset:944 ; 4-byte Folded Reload
	buffer_load_dword v45, off, s[40:43], 0 offset:948 ; 4-byte Folded Reload
	s_waitcnt vmcnt(0)
	v_fma_f64 v[0:1], v[8:9], v[44:45], v[0:1]
	buffer_load_dword v44, off, s[40:43], 0 offset:960 ; 4-byte Folded Reload
	buffer_load_dword v45, off, s[40:43], 0 offset:964 ; 4-byte Folded Reload
	;; [unrolled: 4-line block ×4, first 2 shown]
	buffer_load_dword v52, off, s[40:43], 0 offset:1008 ; 4-byte Folded Reload
	buffer_load_dword v53, off, s[40:43], 0 offset:1012 ; 4-byte Folded Reload
	s_waitcnt vmcnt(2)
	v_fma_f64 v[0:1], v[60:61], v[44:45], v[0:1]
	buffer_load_dword v44, off, s[40:43], 0 offset:1032 ; 4-byte Folded Reload
	buffer_load_dword v45, off, s[40:43], 0 offset:1036 ; 4-byte Folded Reload
	s_waitcnt vmcnt(2)
	v_fma_f64 v[0:1], v[4:5], v[52:53], v[0:1]
	s_waitcnt vmcnt(0)
	v_fma_f64 v[0:1], v[12:13], v[44:45], v[0:1]
	buffer_store_dword v0, off, s[40:43], 0 offset:1768 ; 4-byte Folded Spill
	s_nop 0
	buffer_store_dword v1, off, s[40:43], 0 offset:1772 ; 4-byte Folded Spill
	buffer_load_dword v50, off, s[40:43], 0 offset:544 ; 4-byte Folded Reload
	buffer_load_dword v51, off, s[40:43], 0 offset:548 ; 4-byte Folded Reload
	v_fma_f64 v[0:1], v[2:3], v[22:23], 0
	buffer_load_dword v22, off, s[40:43], 0 offset:832 ; 4-byte Folded Reload
	buffer_load_dword v23, off, s[40:43], 0 offset:836 ; 4-byte Folded Reload
	s_waitcnt vmcnt(2)
	v_fma_f64 v[0:1], v[6:7], v[50:51], v[0:1]
	s_waitcnt vmcnt(0)
	v_fma_f64 v[0:1], v[8:9], v[22:23], v[0:1]
	buffer_load_dword v22, off, s[40:43], 0 offset:864 ; 4-byte Folded Reload
	buffer_load_dword v23, off, s[40:43], 0 offset:868 ; 4-byte Folded Reload
	s_waitcnt vmcnt(0)
	v_fma_f64 v[0:1], v[10:11], v[22:23], v[0:1]
	buffer_load_dword v22, off, s[40:43], 0 offset:896 ; 4-byte Folded Reload
	buffer_load_dword v23, off, s[40:43], 0 offset:900 ; 4-byte Folded Reload
	;; [unrolled: 4-line block ×5, first 2 shown]
	s_waitcnt vmcnt(0)
	v_fma_f64 v[0:1], v[12:13], v[22:23], v[0:1]
	buffer_store_dword v0, off, s[40:43], 0 offset:1776 ; 4-byte Folded Spill
	s_nop 0
	buffer_store_dword v1, off, s[40:43], 0 offset:1780 ; 4-byte Folded Spill
	v_fma_f64 v[0:1], v[2:3], v[20:21], 0
	buffer_load_dword v20, off, s[40:43], 0 offset:752 ; 4-byte Folded Reload
	buffer_load_dword v21, off, s[40:43], 0 offset:756 ; 4-byte Folded Reload
	s_waitcnt vmcnt(0)
	v_fma_f64 v[0:1], v[6:7], v[20:21], v[0:1]
	buffer_load_dword v20, off, s[40:43], 0 offset:1120 ; 4-byte Folded Reload
	buffer_load_dword v21, off, s[40:43], 0 offset:1124 ; 4-byte Folded Reload
	;; [unrolled: 1-line block ×4, first 2 shown]
	s_waitcnt vmcnt(2)
	v_fma_f64 v[0:1], v[8:9], v[20:21], v[0:1]
	buffer_load_dword v20, off, s[40:43], 0 offset:816 ; 4-byte Folded Reload
	buffer_load_dword v21, off, s[40:43], 0 offset:820 ; 4-byte Folded Reload
	s_waitcnt vmcnt(2)
	v_fma_f64 v[0:1], v[10:11], v[44:45], v[0:1]
	v_fma_f64 v[0:1], v[28:29], v[42:43], v[0:1]
	buffer_load_dword v42, off, s[40:43], 0 offset:848 ; 4-byte Folded Reload
	buffer_load_dword v43, off, s[40:43], 0 offset:852 ; 4-byte Folded Reload
	s_waitcnt vmcnt(2)
	v_fma_f64 v[0:1], v[60:61], v[20:21], v[0:1]
	buffer_load_dword v20, off, s[40:43], 0 offset:880 ; 4-byte Folded Reload
	buffer_load_dword v21, off, s[40:43], 0 offset:884 ; 4-byte Folded Reload
	s_waitcnt vmcnt(2)
	v_fma_f64 v[0:1], v[4:5], v[42:43], v[0:1]
	s_waitcnt vmcnt(0)
	v_fma_f64 v[0:1], v[12:13], v[20:21], v[0:1]
	buffer_store_dword v0, off, s[40:43], 0 offset:1792 ; 4-byte Folded Spill
	s_nop 0
	buffer_store_dword v1, off, s[40:43], 0 offset:1796 ; 4-byte Folded Spill
	v_fma_f64 v[0:1], v[2:3], v[18:19], 0
	buffer_load_dword v18, off, s[40:43], 0 offset:512 ; 4-byte Folded Reload
	buffer_load_dword v19, off, s[40:43], 0 offset:516 ; 4-byte Folded Reload
	s_waitcnt vmcnt(0)
	v_fma_f64 v[0:1], v[6:7], v[18:19], v[0:1]
	buffer_load_dword v18, off, s[40:43], 0 offset:784 ; 4-byte Folded Reload
	buffer_load_dword v19, off, s[40:43], 0 offset:788 ; 4-byte Folded Reload
	s_waitcnt vmcnt(0)
	v_fma_f64 v[0:1], v[8:9], v[18:19], v[0:1]
	buffer_load_dword v18, off, s[40:43], 0 offset:1112 ; 4-byte Folded Reload
	buffer_load_dword v19, off, s[40:43], 0 offset:1116 ; 4-byte Folded Reload
	s_waitcnt vmcnt(0)
	v_fma_f64 v[0:1], v[10:11], v[18:19], v[0:1]
	buffer_load_dword v18, off, s[40:43], 0 offset:736 ; 4-byte Folded Reload
	buffer_load_dword v19, off, s[40:43], 0 offset:740 ; 4-byte Folded Reload
	s_waitcnt vmcnt(0)
	v_fma_f64 v[0:1], v[28:29], v[18:19], v[0:1]
	buffer_load_dword v18, off, s[40:43], 0 offset:528 ; 4-byte Folded Reload
	buffer_load_dword v19, off, s[40:43], 0 offset:532 ; 4-byte Folded Reload
	;; [unrolled: 1-line block ×4, first 2 shown]
	s_waitcnt vmcnt(2)
	v_fma_f64 v[0:1], v[60:61], v[18:19], v[0:1]
	buffer_load_dword v18, off, s[40:43], 0 offset:800 ; 4-byte Folded Reload
	buffer_load_dword v19, off, s[40:43], 0 offset:804 ; 4-byte Folded Reload
	s_waitcnt vmcnt(2)
	v_fma_f64 v[0:1], v[4:5], v[48:49], v[0:1]
	s_waitcnt vmcnt(0)
	v_fma_f64 v[0:1], v[12:13], v[18:19], v[0:1]
	buffer_store_dword v0, off, s[40:43], 0 offset:1976 ; 4-byte Folded Spill
	s_nop 0
	buffer_store_dword v1, off, s[40:43], 0 offset:1980 ; 4-byte Folded Spill
	buffer_load_dword v0, off, s[40:43], 0 offset:1264 ; 4-byte Folded Reload
	s_nop 0
	buffer_load_dword v1, off, s[40:43], 0 offset:1268 ; 4-byte Folded Reload
	s_waitcnt vmcnt(0)
	v_fma_f64 v[0:1], v[2:3], v[0:1], 0
	buffer_load_dword v2, off, s[40:43], 0 offset:1240 ; 4-byte Folded Reload
	buffer_load_dword v3, off, s[40:43], 0 offset:1244 ; 4-byte Folded Reload
	s_waitcnt vmcnt(0)
	v_fma_f64 v[0:1], v[6:7], v[2:3], v[0:1]
	buffer_load_dword v2, off, s[40:43], 0 offset:720 ; 4-byte Folded Reload
	;; [unrolled: 4-line block ×5, first 2 shown]
	buffer_load_dword v3, off, s[40:43], 0 offset:1132 ; 4-byte Folded Reload
	v_fma_f64 v[0:1], v[60:61], v[32:33], v[0:1]
	v_fma_f64 v[0:1], v[4:5], v[46:47], v[0:1]
	s_waitcnt vmcnt(0)
	v_fma_f64 v[0:1], v[12:13], v[2:3], v[0:1]
	buffer_store_dword v0, off, s[40:43], 0 offset:1448 ; 4-byte Folded Spill
	s_nop 0
	buffer_store_dword v1, off, s[40:43], 0 offset:1452 ; 4-byte Folded Spill
	buffer_load_dword v2, off, s[40:43], 0 offset:1440 ; 4-byte Folded Reload
	buffer_load_dword v3, off, s[40:43], 0 offset:1444 ; 4-byte Folded Reload
	s_nop 0
	buffer_load_dword v0, off, s[40:43], 0 offset:1312 ; 4-byte Folded Reload
	buffer_load_dword v1, off, s[40:43], 0 offset:1316 ; 4-byte Folded Reload
	;; [unrolled: 1-line block ×18, first 2 shown]
	s_waitcnt vmcnt(16)
	v_fma_f64 v[0:1], v[2:3], v[0:1], 0
	s_waitcnt vmcnt(12)
	v_fma_f64 v[0:1], v[6:7], v[4:5], v[0:1]
	buffer_load_dword v28, off, s[40:43], 0 offset:2000 ; 4-byte Folded Reload
	buffer_load_dword v29, off, s[40:43], 0 offset:2004 ; 4-byte Folded Reload
	;; [unrolled: 1-line block ×4, first 2 shown]
	s_waitcnt vmcnt(14)
	v_fma_f64 v[0:1], v[8:9], v[40:41], v[0:1]
	s_waitcnt vmcnt(12)
	v_fma_f64 v[0:1], v[10:11], v[16:17], v[0:1]
	;; [unrolled: 2-line block ×6, first 2 shown]
	buffer_store_dword v0, off, s[40:43], 0 offset:1688 ; 4-byte Folded Spill
	s_nop 0
	buffer_store_dword v1, off, s[40:43], 0 offset:1692 ; 4-byte Folded Spill
	buffer_load_dword v46, off, s[40:43], 0 offset:1280 ; 4-byte Folded Reload
	buffer_load_dword v47, off, s[40:43], 0 offset:1284 ; 4-byte Folded Reload
	;; [unrolled: 1-line block ×4, first 2 shown]
	s_waitcnt vmcnt(2)
	v_fma_f64 v[0:1], v[2:3], v[46:47], 0
	s_waitcnt vmcnt(0)
	v_fma_f64 v[0:1], v[6:7], v[4:5], v[0:1]
	buffer_load_dword v4, off, s[40:43], 0 offset:1056 ; 4-byte Folded Reload
	buffer_load_dword v5, off, s[40:43], 0 offset:1060 ; 4-byte Folded Reload
	v_fma_f64 v[0:1], v[8:9], v[14:15], v[0:1]
	s_waitcnt vmcnt(0)
	v_fma_f64 v[0:1], v[10:11], v[4:5], v[0:1]
	v_fma_f64 v[0:1], v[18:19], v[36:37], v[0:1]
	;; [unrolled: 1-line block ×5, first 2 shown]
	buffer_store_dword v0, off, s[40:43], 0 offset:1704 ; 4-byte Folded Spill
	s_nop 0
	buffer_store_dword v1, off, s[40:43], 0 offset:1708 ; 4-byte Folded Spill
	buffer_load_dword v26, off, s[40:43], 0 offset:1272 ; 4-byte Folded Reload
	buffer_load_dword v27, off, s[40:43], 0 offset:1276 ; 4-byte Folded Reload
	;; [unrolled: 1-line block ×4, first 2 shown]
	s_waitcnt vmcnt(2)
	v_fma_f64 v[0:1], v[2:3], v[26:27], 0
	s_waitcnt vmcnt(0)
	v_fma_f64 v[0:1], v[6:7], v[4:5], v[0:1]
	buffer_load_dword v4, off, s[40:43], 0 offset:992 ; 4-byte Folded Reload
	buffer_load_dword v5, off, s[40:43], 0 offset:996 ; 4-byte Folded Reload
	s_waitcnt vmcnt(0)
	v_fma_f64 v[0:1], v[8:9], v[4:5], v[0:1]
	buffer_load_dword v4, off, s[40:43], 0 offset:1024 ; 4-byte Folded Reload
	buffer_load_dword v5, off, s[40:43], 0 offset:1028 ; 4-byte Folded Reload
	s_waitcnt vmcnt(0)
	v_fma_f64 v[0:1], v[10:11], v[4:5], v[0:1]
	v_fma_f64 v[0:1], v[18:19], v[54:55], v[0:1]
	;; [unrolled: 1-line block ×5, first 2 shown]
	buffer_store_dword v0, off, s[40:43], 0 offset:1712 ; 4-byte Folded Spill
	s_nop 0
	buffer_store_dword v1, off, s[40:43], 0 offset:1716 ; 4-byte Folded Spill
	buffer_load_dword v58, off, s[40:43], 0 offset:1232 ; 4-byte Folded Reload
	buffer_load_dword v59, off, s[40:43], 0 offset:1236 ; 4-byte Folded Reload
	;; [unrolled: 1-line block ×4, first 2 shown]
	s_waitcnt vmcnt(2)
	v_fma_f64 v[0:1], v[2:3], v[58:59], 0
	s_waitcnt vmcnt(0)
	v_fma_f64 v[0:1], v[6:7], v[4:5], v[0:1]
	buffer_load_dword v4, off, s[40:43], 0 offset:944 ; 4-byte Folded Reload
	buffer_load_dword v5, off, s[40:43], 0 offset:948 ; 4-byte Folded Reload
	;; [unrolled: 1-line block ×4, first 2 shown]
	s_waitcnt vmcnt(2)
	v_fma_f64 v[0:1], v[8:9], v[4:5], v[0:1]
	buffer_load_dword v4, off, s[40:43], 0 offset:576 ; 4-byte Folded Reload
	buffer_load_dword v5, off, s[40:43], 0 offset:580 ; 4-byte Folded Reload
	s_waitcnt vmcnt(2)
	v_fma_f64 v[0:1], v[10:11], v[14:15], v[0:1]
	s_waitcnt vmcnt(0)
	v_fma_f64 v[0:1], v[18:19], v[4:5], v[0:1]
	buffer_load_dword v4, off, s[40:43], 0 offset:976 ; 4-byte Folded Reload
	buffer_load_dword v5, off, s[40:43], 0 offset:980 ; 4-byte Folded Reload
	s_waitcnt vmcnt(0)
	v_fma_f64 v[0:1], v[20:21], v[4:5], v[0:1]
	buffer_load_dword v4, off, s[40:43], 0 offset:1032 ; 4-byte Folded Reload
	buffer_load_dword v5, off, s[40:43], 0 offset:1036 ; 4-byte Folded Reload
	v_fma_f64 v[0:1], v[22:23], v[52:53], v[0:1]
	s_waitcnt vmcnt(0)
	v_fma_f64 v[0:1], v[28:29], v[4:5], v[0:1]
	buffer_store_dword v0, off, s[40:43], 0 offset:1720 ; 4-byte Folded Spill
	s_nop 0
	buffer_store_dword v1, off, s[40:43], 0 offset:1724 ; 4-byte Folded Spill
	buffer_load_dword v0, off, s[40:43], 0 offset:1304 ; 4-byte Folded Reload
	s_nop 0
	buffer_load_dword v1, off, s[40:43], 0 offset:1308 ; 4-byte Folded Reload
	buffer_load_dword v24, off, s[40:43], 0 offset:832 ; 4-byte Folded Reload
	;; [unrolled: 1-line block ×7, first 2 shown]
	s_waitcnt vmcnt(6)
	v_fma_f64 v[0:1], v[2:3], v[0:1], 0
	v_fma_f64 v[0:1], v[6:7], v[50:51], v[0:1]
	s_waitcnt vmcnt(4)
	v_fma_f64 v[0:1], v[8:9], v[24:25], v[0:1]
	s_waitcnt vmcnt(2)
	;; [unrolled: 2-line block ×3, first 2 shown]
	v_fma_f64 v[0:1], v[18:19], v[12:13], v[0:1]
	buffer_load_dword v12, off, s[40:43], 0 offset:928 ; 4-byte Folded Reload
	buffer_load_dword v13, off, s[40:43], 0 offset:932 ; 4-byte Folded Reload
	s_waitcnt vmcnt(0)
	v_fma_f64 v[0:1], v[20:21], v[12:13], v[0:1]
	buffer_load_dword v12, off, s[40:43], 0 offset:560 ; 4-byte Folded Reload
	buffer_load_dword v13, off, s[40:43], 0 offset:564 ; 4-byte Folded Reload
	s_waitcnt vmcnt(0)
	;; [unrolled: 4-line block ×3, first 2 shown]
	v_fma_f64 v[0:1], v[28:29], v[12:13], v[0:1]
	buffer_store_dword v0, off, s[40:43], 0 offset:1728 ; 4-byte Folded Spill
	s_nop 0
	buffer_store_dword v1, off, s[40:43], 0 offset:1732 ; 4-byte Folded Spill
	buffer_load_dword v0, off, s[40:43], 0 offset:1296 ; 4-byte Folded Reload
	s_nop 0
	buffer_load_dword v1, off, s[40:43], 0 offset:1300 ; 4-byte Folded Reload
	buffer_load_dword v34, off, s[40:43], 0 offset:752 ; 4-byte Folded Reload
	;; [unrolled: 1-line block ×5, first 2 shown]
	s_waitcnt vmcnt(4)
	v_fma_f64 v[0:1], v[2:3], v[0:1], 0
	s_waitcnt vmcnt(2)
	v_fma_f64 v[0:1], v[6:7], v[34:35], v[0:1]
	;; [unrolled: 2-line block ×3, first 2 shown]
	buffer_load_dword v16, off, s[40:43], 0 offset:1160 ; 4-byte Folded Reload
	buffer_load_dword v17, off, s[40:43], 0 offset:1164 ; 4-byte Folded Reload
	;; [unrolled: 1-line block ×4, first 2 shown]
	v_fma_f64 v[0:1], v[10:11], v[44:45], v[0:1]
	s_waitcnt vmcnt(2)
	v_fma_f64 v[0:1], v[18:19], v[16:17], v[0:1]
	buffer_load_dword v16, off, s[40:43], 0 offset:880 ; 4-byte Folded Reload
	buffer_load_dword v17, off, s[40:43], 0 offset:884 ; 4-byte Folded Reload
	s_waitcnt vmcnt(2)
	v_fma_f64 v[0:1], v[20:21], v[40:41], v[0:1]
	v_fma_f64 v[0:1], v[22:23], v[42:43], v[0:1]
	s_waitcnt vmcnt(0)
	v_fma_f64 v[0:1], v[28:29], v[16:17], v[0:1]
	buffer_store_dword v0, off, s[40:43], 0 offset:1744 ; 4-byte Folded Spill
	s_nop 0
	buffer_store_dword v1, off, s[40:43], 0 offset:1748 ; 4-byte Folded Spill
	buffer_load_dword v0, off, s[40:43], 0 offset:1288 ; 4-byte Folded Reload
	s_nop 0
	buffer_load_dword v1, off, s[40:43], 0 offset:1292 ; 4-byte Folded Reload
	buffer_load_dword v38, off, s[40:43], 0 offset:512 ; 4-byte Folded Reload
	;; [unrolled: 1-line block ×11, first 2 shown]
	s_waitcnt vmcnt(10)
	v_fma_f64 v[0:1], v[2:3], v[0:1], 0
	s_waitcnt vmcnt(8)
	v_fma_f64 v[0:1], v[6:7], v[38:39], v[0:1]
	;; [unrolled: 2-line block ×3, first 2 shown]
	buffer_load_dword v16, off, s[40:43], 0 offset:800 ; 4-byte Folded Reload
	buffer_load_dword v17, off, s[40:43], 0 offset:804 ; 4-byte Folded Reload
	s_waitcnt vmcnt(6)
	v_fma_f64 v[0:1], v[10:11], v[56:57], v[0:1]
	s_waitcnt vmcnt(4)
	v_fma_f64 v[0:1], v[18:19], v[30:31], v[0:1]
	;; [unrolled: 2-line block ×3, first 2 shown]
	v_fma_f64 v[0:1], v[22:23], v[48:49], v[0:1]
	s_waitcnt vmcnt(0)
	v_fma_f64 v[0:1], v[28:29], v[16:17], v[0:1]
	buffer_store_dword v0, off, s[40:43], 0 offset:1992 ; 4-byte Folded Spill
	s_nop 0
	buffer_store_dword v1, off, s[40:43], 0 offset:1996 ; 4-byte Folded Spill
	buffer_load_dword v60, off, s[40:43], 0 offset:1264 ; 4-byte Folded Reload
	buffer_load_dword v61, off, s[40:43], 0 offset:1268 ; 4-byte Folded Reload
	s_waitcnt vmcnt(0)
	v_fma_f64 v[0:1], v[2:3], v[60:61], 0
	buffer_load_dword v2, off, s[40:43], 0 offset:1240 ; 4-byte Folded Reload
	buffer_load_dword v3, off, s[40:43], 0 offset:1244 ; 4-byte Folded Reload
	s_waitcnt vmcnt(0)
	v_fma_f64 v[0:1], v[6:7], v[2:3], v[0:1]
	buffer_load_dword v2, off, s[40:43], 0 offset:720 ; 4-byte Folded Reload
	buffer_load_dword v3, off, s[40:43], 0 offset:724 ; 4-byte Folded Reload
	;; [unrolled: 1-line block ×6, first 2 shown]
	s_waitcnt vmcnt(4)
	v_fma_f64 v[0:1], v[8:9], v[2:3], v[0:1]
	buffer_load_dword v2, off, s[40:43], 0 offset:1336 ; 4-byte Folded Reload
	buffer_load_dword v3, off, s[40:43], 0 offset:1340 ; 4-byte Folded Reload
	s_waitcnt vmcnt(4)
	v_fma_f64 v[0:1], v[10:11], v[16:17], v[0:1]
	s_waitcnt vmcnt(2)
	v_fma_f64 v[0:1], v[18:19], v[62:63], v[0:1]
	;; [unrolled: 2-line block ×3, first 2 shown]
	buffer_load_dword v2, off, s[40:43], 0 offset:1256 ; 4-byte Folded Reload
	buffer_load_dword v3, off, s[40:43], 0 offset:1260 ; 4-byte Folded Reload
	s_waitcnt vmcnt(0)
	v_fma_f64 v[0:1], v[22:23], v[2:3], v[0:1]
	buffer_load_dword v2, off, s[40:43], 0 offset:1128 ; 4-byte Folded Reload
	buffer_load_dword v3, off, s[40:43], 0 offset:1132 ; 4-byte Folded Reload
	s_waitcnt vmcnt(0)
	v_fma_f64 v[0:1], v[28:29], v[2:3], v[0:1]
	buffer_store_dword v0, off, s[40:43], 0 offset:1440 ; 4-byte Folded Spill
	s_nop 0
	buffer_store_dword v1, off, s[40:43], 0 offset:1444 ; 4-byte Folded Spill
	buffer_load_dword v6, off, s[40:43], 0 offset:1432 ; 4-byte Folded Reload
	buffer_load_dword v7, off, s[40:43], 0 offset:1436 ; 4-byte Folded Reload
	s_nop 0
	buffer_load_dword v0, off, s[40:43], 0 offset:1312 ; 4-byte Folded Reload
	buffer_load_dword v1, off, s[40:43], 0 offset:1316 ; 4-byte Folded Reload
	;; [unrolled: 1-line block ×6, first 2 shown]
	s_waitcnt vmcnt(4)
	v_fma_f64 v[0:1], v[6:7], v[0:1], 0
	s_waitcnt vmcnt(0)
	v_fma_f64 v[0:1], v[8:9], v[2:3], v[0:1]
	buffer_load_dword v10, off, s[40:43], 0 offset:1608 ; 4-byte Folded Reload
	buffer_load_dword v11, off, s[40:43], 0 offset:1612 ; 4-byte Folded Reload
	buffer_load_dword v2, off, s[40:43], 0 offset:1064 ; 4-byte Folded Reload
	buffer_load_dword v3, off, s[40:43], 0 offset:1068 ; 4-byte Folded Reload
	s_waitcnt vmcnt(0)
	v_fma_f64 v[0:1], v[10:11], v[2:3], v[0:1]
	buffer_load_dword v18, off, s[40:43], 0 offset:1616 ; 4-byte Folded Reload
	buffer_load_dword v19, off, s[40:43], 0 offset:1620 ; 4-byte Folded Reload
	buffer_load_dword v2, off, s[40:43], 0 offset:1072 ; 4-byte Folded Reload
	buffer_load_dword v3, off, s[40:43], 0 offset:1076 ; 4-byte Folded Reload
	;; [unrolled: 6-line block ×4, first 2 shown]
	buffer_load_dword v28, off, s[40:43], 0 offset:1648 ; 4-byte Folded Reload
	buffer_load_dword v29, off, s[40:43], 0 offset:1652 ; 4-byte Folded Reload
	s_waitcnt vmcnt(2)
	v_fma_f64 v[0:1], v[22:23], v[2:3], v[0:1]
	buffer_load_dword v50, off, s[40:43], 0 offset:1984 ; 4-byte Folded Reload
	buffer_load_dword v51, off, s[40:43], 0 offset:1988 ; 4-byte Folded Reload
	;; [unrolled: 1-line block ×4, first 2 shown]
	s_waitcnt vmcnt(4)
	v_fma_f64 v[0:1], v[28:29], v[32:33], v[0:1]
	s_waitcnt vmcnt(0)
	v_fma_f64 v[0:1], v[50:51], v[2:3], v[0:1]
	buffer_store_dword v0, off, s[40:43], 0 offset:1640 ; 4-byte Folded Spill
	s_nop 0
	buffer_store_dword v1, off, s[40:43], 0 offset:1644 ; 4-byte Folded Spill
	buffer_load_dword v42, off, s[40:43], 0 offset:1040 ; 4-byte Folded Reload
	buffer_load_dword v43, off, s[40:43], 0 offset:1044 ; 4-byte Folded Reload
	;; [unrolled: 1-line block ×8, first 2 shown]
	v_fma_f64 v[2:3], v[6:7], v[46:47], 0
	s_waitcnt vmcnt(6)
	v_fma_f64 v[2:3], v[8:9], v[42:43], v[2:3]
	s_waitcnt vmcnt(4)
	;; [unrolled: 2-line block ×4, first 2 shown]
	v_fma_f64 v[2:3], v[20:21], v[0:1], v[2:3]
	buffer_load_dword v0, off, s[40:43], 0 offset:672 ; 4-byte Folded Reload
	buffer_load_dword v1, off, s[40:43], 0 offset:676 ; 4-byte Folded Reload
	s_waitcnt vmcnt(0)
	v_fma_f64 v[2:3], v[22:23], v[0:1], v[2:3]
	buffer_load_dword v0, off, s[40:43], 0 offset:688 ; 4-byte Folded Reload
	buffer_load_dword v1, off, s[40:43], 0 offset:692 ; 4-byte Folded Reload
	s_waitcnt vmcnt(0)
	;; [unrolled: 4-line block ×3, first 2 shown]
	v_fma_f64 v[0:1], v[50:51], v[0:1], v[2:3]
	buffer_store_dword v0, off, s[40:43], 0 offset:1656 ; 4-byte Folded Spill
	s_nop 0
	buffer_store_dword v1, off, s[40:43], 0 offset:1660 ; 4-byte Folded Spill
	buffer_load_dword v0, off, s[40:43], 0 offset:1144 ; 4-byte Folded Reload
	s_nop 0
	buffer_load_dword v1, off, s[40:43], 0 offset:1148 ; 4-byte Folded Reload
	v_fma_f64 v[2:3], v[6:7], v[26:27], 0
	s_waitcnt vmcnt(0)
	v_fma_f64 v[2:3], v[8:9], v[0:1], v[2:3]
	buffer_load_dword v0, off, s[40:43], 0 offset:992 ; 4-byte Folded Reload
	buffer_load_dword v1, off, s[40:43], 0 offset:996 ; 4-byte Folded Reload
	buffer_load_dword v48, off, s[40:43], 0 offset:1024 ; 4-byte Folded Reload
	buffer_load_dword v49, off, s[40:43], 0 offset:1028 ; 4-byte Folded Reload
	s_waitcnt vmcnt(2)
	v_fma_f64 v[2:3], v[10:11], v[0:1], v[2:3]
	buffer_load_dword v0, off, s[40:43], 0 offset:592 ; 4-byte Folded Reload
	buffer_load_dword v1, off, s[40:43], 0 offset:596 ; 4-byte Folded Reload
	s_waitcnt vmcnt(2)
	v_fma_f64 v[2:3], v[18:19], v[48:49], v[2:3]
	s_waitcnt vmcnt(0)
	v_fma_f64 v[2:3], v[20:21], v[0:1], v[2:3]
	buffer_load_dword v0, off, s[40:43], 0 offset:608 ; 4-byte Folded Reload
	buffer_load_dword v1, off, s[40:43], 0 offset:612 ; 4-byte Folded Reload
	s_waitcnt vmcnt(0)
	v_fma_f64 v[2:3], v[22:23], v[0:1], v[2:3]
	buffer_load_dword v0, off, s[40:43], 0 offset:624 ; 4-byte Folded Reload
	buffer_load_dword v1, off, s[40:43], 0 offset:628 ; 4-byte Folded Reload
	;; [unrolled: 4-line block ×3, first 2 shown]
	s_waitcnt vmcnt(0)
	v_fma_f64 v[0:1], v[50:51], v[0:1], v[2:3]
	buffer_store_dword v0, off, s[40:43], 0 offset:1664 ; 4-byte Folded Spill
	s_nop 0
	buffer_store_dword v1, off, s[40:43], 0 offset:1668 ; 4-byte Folded Spill
	buffer_load_dword v26, off, s[40:43], 0 offset:912 ; 4-byte Folded Reload
	buffer_load_dword v27, off, s[40:43], 0 offset:916 ; 4-byte Folded Reload
	v_fma_f64 v[2:3], v[6:7], v[58:59], 0
	buffer_load_dword v58, off, s[40:43], 0 offset:944 ; 4-byte Folded Reload
	buffer_load_dword v59, off, s[40:43], 0 offset:948 ; 4-byte Folded Reload
	;; [unrolled: 1-line block ×4, first 2 shown]
	s_waitcnt vmcnt(4)
	v_fma_f64 v[2:3], v[8:9], v[26:27], v[2:3]
	s_waitcnt vmcnt(2)
	v_fma_f64 v[2:3], v[10:11], v[58:59], v[2:3]
	v_fma_f64 v[2:3], v[18:19], v[14:15], v[2:3]
	s_waitcnt vmcnt(0)
	v_fma_f64 v[2:3], v[20:21], v[0:1], v[2:3]
	buffer_load_dword v0, off, s[40:43], 0 offset:976 ; 4-byte Folded Reload
	buffer_load_dword v1, off, s[40:43], 0 offset:980 ; 4-byte Folded Reload
	s_waitcnt vmcnt(0)
	v_fma_f64 v[2:3], v[22:23], v[0:1], v[2:3]
	buffer_load_dword v0, off, s[40:43], 0 offset:1008 ; 4-byte Folded Reload
	buffer_load_dword v1, off, s[40:43], 0 offset:1012 ; 4-byte Folded Reload
	s_waitcnt vmcnt(0)
	v_fma_f64 v[2:3], v[28:29], v[0:1], v[2:3]
	v_fma_f64 v[0:1], v[50:51], v[4:5], v[2:3]
	buffer_store_dword v0, off, s[40:43], 0 offset:1672 ; 4-byte Folded Spill
	s_nop 0
	buffer_store_dword v1, off, s[40:43], 0 offset:1676 ; 4-byte Folded Spill
	buffer_load_dword v0, off, s[40:43], 0 offset:1304 ; 4-byte Folded Reload
	s_nop 0
	buffer_load_dword v1, off, s[40:43], 0 offset:1308 ; 4-byte Folded Reload
	s_waitcnt vmcnt(0)
	v_fma_f64 v[2:3], v[6:7], v[0:1], 0
	buffer_load_dword v0, off, s[40:43], 0 offset:544 ; 4-byte Folded Reload
	buffer_load_dword v1, off, s[40:43], 0 offset:548 ; 4-byte Folded Reload
	;; [unrolled: 1-line block ×4, first 2 shown]
	s_waitcnt vmcnt(2)
	v_fma_f64 v[2:3], v[8:9], v[0:1], v[2:3]
	v_fma_f64 v[2:3], v[10:11], v[24:25], v[2:3]
	v_fma_f64 v[2:3], v[18:19], v[54:55], v[2:3]
	buffer_load_dword v54, off, s[40:43], 0 offset:928 ; 4-byte Folded Reload
	buffer_load_dword v55, off, s[40:43], 0 offset:932 ; 4-byte Folded Reload
	;; [unrolled: 1-line block ×4, first 2 shown]
	s_waitcnt vmcnt(4)
	v_fma_f64 v[2:3], v[20:21], v[4:5], v[2:3]
	s_waitcnt vmcnt(2)
	v_fma_f64 v[2:3], v[22:23], v[54:55], v[2:3]
	s_waitcnt vmcnt(0)
	v_fma_f64 v[2:3], v[28:29], v[24:25], v[2:3]
	v_fma_f64 v[0:1], v[50:51], v[12:13], v[2:3]
	buffer_store_dword v0, off, s[40:43], 0 offset:1680 ; 4-byte Folded Spill
	s_nop 0
	buffer_store_dword v1, off, s[40:43], 0 offset:1684 ; 4-byte Folded Spill
	buffer_load_dword v0, off, s[40:43], 0 offset:1296 ; 4-byte Folded Reload
	s_nop 0
	buffer_load_dword v1, off, s[40:43], 0 offset:1300 ; 4-byte Folded Reload
	s_waitcnt vmcnt(0)
	v_fma_f64 v[2:3], v[6:7], v[0:1], 0
	buffer_load_dword v0, off, s[40:43], 0 offset:1120 ; 4-byte Folded Reload
	buffer_load_dword v1, off, s[40:43], 0 offset:1124 ; 4-byte Folded Reload
	v_fma_f64 v[2:3], v[8:9], v[34:35], v[2:3]
	s_waitcnt vmcnt(0)
	v_fma_f64 v[2:3], v[10:11], v[0:1], v[2:3]
	buffer_load_dword v0, off, s[40:43], 0 offset:1104 ; 4-byte Folded Reload
	buffer_load_dword v1, off, s[40:43], 0 offset:1108 ; 4-byte Folded Reload
	s_waitcnt vmcnt(0)
	v_fma_f64 v[2:3], v[18:19], v[0:1], v[2:3]
	buffer_load_dword v0, off, s[40:43], 0 offset:1160 ; 4-byte Folded Reload
	buffer_load_dword v1, off, s[40:43], 0 offset:1164 ; 4-byte Folded Reload
	;; [unrolled: 4-line block ×3, first 2 shown]
	buffer_load_dword v14, off, s[40:43], 0 offset:880 ; 4-byte Folded Reload
	buffer_load_dword v15, off, s[40:43], 0 offset:884 ; 4-byte Folded Reload
	v_fma_f64 v[2:3], v[22:23], v[40:41], v[2:3]
	v_mov_b32_e32 v41, v17
	v_mov_b32_e32 v40, v16
	s_waitcnt vmcnt(2)
	v_fma_f64 v[2:3], v[28:29], v[0:1], v[2:3]
	s_waitcnt vmcnt(0)
	v_fma_f64 v[0:1], v[50:51], v[14:15], v[2:3]
	buffer_store_dword v0, off, s[40:43], 0 offset:2000 ; 4-byte Folded Spill
	s_nop 0
	buffer_store_dword v1, off, s[40:43], 0 offset:2004 ; 4-byte Folded Spill
	buffer_load_dword v0, off, s[40:43], 0 offset:1288 ; 4-byte Folded Reload
	s_nop 0
	buffer_load_dword v1, off, s[40:43], 0 offset:1292 ; 4-byte Folded Reload
	buffer_load_dword v34, off, s[40:43], 0 offset:784 ; 4-byte Folded Reload
	;; [unrolled: 1-line block ×3, first 2 shown]
	s_waitcnt vmcnt(2)
	v_fma_f64 v[2:3], v[6:7], v[0:1], 0
	v_fma_f64 v[2:3], v[8:9], v[38:39], v[2:3]
	s_waitcnt vmcnt(0)
	v_fma_f64 v[2:3], v[10:11], v[34:35], v[2:3]
	v_fma_f64 v[2:3], v[18:19], v[56:57], v[2:3]
	;; [unrolled: 1-line block ×3, first 2 shown]
	buffer_load_dword v30, off, s[40:43], 0 offset:768 ; 4-byte Folded Reload
	buffer_load_dword v31, off, s[40:43], 0 offset:772 ; 4-byte Folded Reload
	;; [unrolled: 1-line block ×4, first 2 shown]
	v_fma_f64 v[2:3], v[22:23], v[36:37], v[2:3]
	s_waitcnt vmcnt(2)
	v_fma_f64 v[2:3], v[28:29], v[30:31], v[2:3]
	s_waitcnt vmcnt(0)
	v_fma_f64 v[0:1], v[50:51], v[32:33], v[2:3]
	buffer_store_dword v0, off, s[40:43], 0 offset:1696 ; 4-byte Folded Spill
	s_nop 0
	buffer_store_dword v1, off, s[40:43], 0 offset:1700 ; 4-byte Folded Spill
	buffer_load_dword v38, off, s[40:43], 0 offset:1240 ; 4-byte Folded Reload
	buffer_load_dword v39, off, s[40:43], 0 offset:1244 ; 4-byte Folded Reload
	buffer_load_dword v46, off, s[40:43], 0 offset:720 ; 4-byte Folded Reload
	buffer_load_dword v47, off, s[40:43], 0 offset:724 ; 4-byte Folded Reload
	v_fma_f64 v[2:3], v[6:7], v[60:61], 0
	buffer_load_dword v60, off, s[40:43], 0 offset:1336 ; 4-byte Folded Reload
	buffer_load_dword v61, off, s[40:43], 0 offset:1340 ; 4-byte Folded Reload
	;; [unrolled: 1-line block ×6, first 2 shown]
	s_waitcnt vmcnt(8)
	v_fma_f64 v[2:3], v[8:9], v[38:39], v[2:3]
	s_waitcnt vmcnt(6)
	v_fma_f64 v[2:3], v[10:11], v[46:47], v[2:3]
	v_fma_f64 v[2:3], v[18:19], v[16:17], v[2:3]
	;; [unrolled: 1-line block ×3, first 2 shown]
	s_waitcnt vmcnt(4)
	v_fma_f64 v[2:3], v[22:23], v[60:61], v[2:3]
	s_waitcnt vmcnt(2)
	v_fma_f64 v[2:3], v[28:29], v[36:37], v[2:3]
	;; [unrolled: 2-line block ×3, first 2 shown]
	buffer_store_dword v2, off, s[40:43], 0 offset:1432 ; 4-byte Folded Spill
	s_nop 0
	buffer_store_dword v3, off, s[40:43], 0 offset:1436 ; 4-byte Folded Spill
	buffer_load_dword v6, off, s[40:43], 0 offset:1424 ; 4-byte Folded Reload
	buffer_load_dword v7, off, s[40:43], 0 offset:1428 ; 4-byte Folded Reload
	;; [unrolled: 1-line block ×12, first 2 shown]
	s_waitcnt vmcnt(8)
	v_fma_f64 v[2:3], v[6:7], v[50:51], 0
	s_waitcnt vmcnt(4)
	v_fma_f64 v[2:3], v[8:9], v[56:57], v[2:3]
	;; [unrolled: 2-line block ×3, first 2 shown]
	buffer_load_dword v16, off, s[40:43], 0 offset:1568 ; 4-byte Folded Reload
	buffer_load_dword v17, off, s[40:43], 0 offset:1572 ; 4-byte Folded Reload
	buffer_load_dword v0, off, s[40:43], 0 offset:1072 ; 4-byte Folded Reload
	buffer_load_dword v1, off, s[40:43], 0 offset:1076 ; 4-byte Folded Reload
	s_waitcnt vmcnt(0)
	v_fma_f64 v[2:3], v[16:17], v[0:1], v[2:3]
	buffer_load_dword v18, off, s[40:43], 0 offset:1576 ; 4-byte Folded Reload
	buffer_load_dword v19, off, s[40:43], 0 offset:1580 ; 4-byte Folded Reload
	buffer_load_dword v0, off, s[40:43], 0 offset:1248 ; 4-byte Folded Reload
	buffer_load_dword v1, off, s[40:43], 0 offset:1252 ; 4-byte Folded Reload
	s_waitcnt vmcnt(0)
	v_fma_f64 v[2:3], v[18:19], v[0:1], v[2:3]
	;; [unrolled: 6-line block ×5, first 2 shown]
	buffer_store_dword v0, off, s[40:43], 0 offset:1592 ; 4-byte Folded Spill
	s_nop 0
	buffer_store_dword v1, off, s[40:43], 0 offset:1596 ; 4-byte Folded Spill
	buffer_load_dword v0, off, s[40:43], 0 offset:1280 ; 4-byte Folded Reload
	s_nop 0
	buffer_load_dword v1, off, s[40:43], 0 offset:1284 ; 4-byte Folded Reload
	s_waitcnt vmcnt(0)
	v_fma_f64 v[2:3], v[6:7], v[0:1], 0
	buffer_load_dword v0, off, s[40:43], 0 offset:656 ; 4-byte Folded Reload
	buffer_load_dword v1, off, s[40:43], 0 offset:660 ; 4-byte Folded Reload
	v_fma_f64 v[2:3], v[8:9], v[42:43], v[2:3]
	v_fma_f64 v[2:3], v[10:11], v[44:45], v[2:3]
	v_mov_b32_e32 v45, v13
	v_mov_b32_e32 v44, v12
	v_fma_f64 v[2:3], v[16:17], v[52:53], v[2:3]
	s_waitcnt vmcnt(0)
	v_fma_f64 v[2:3], v[18:19], v[0:1], v[2:3]
	buffer_load_dword v0, off, s[40:43], 0 offset:672 ; 4-byte Folded Reload
	buffer_load_dword v1, off, s[40:43], 0 offset:676 ; 4-byte Folded Reload
	s_waitcnt vmcnt(0)
	v_fma_f64 v[2:3], v[20:21], v[0:1], v[2:3]
	buffer_load_dword v0, off, s[40:43], 0 offset:688 ; 4-byte Folded Reload
	buffer_load_dword v1, off, s[40:43], 0 offset:692 ; 4-byte Folded Reload
	;; [unrolled: 4-line block ×3, first 2 shown]
	s_waitcnt vmcnt(0)
	v_fma_f64 v[2:3], v[28:29], v[0:1], v[2:3]
	buffer_store_dword v2, off, s[40:43], 0 offset:1608 ; 4-byte Folded Spill
	s_nop 0
	buffer_store_dword v3, off, s[40:43], 0 offset:1612 ; 4-byte Folded Spill
	buffer_load_dword v0, off, s[40:43], 0 offset:1272 ; 4-byte Folded Reload
	buffer_load_dword v1, off, s[40:43], 0 offset:1276 ; 4-byte Folded Reload
	;; [unrolled: 1-line block ×4, first 2 shown]
	s_waitcnt vmcnt(2)
	v_fma_f64 v[2:3], v[6:7], v[0:1], 0
	buffer_load_dword v0, off, s[40:43], 0 offset:992 ; 4-byte Folded Reload
	buffer_load_dword v1, off, s[40:43], 0 offset:996 ; 4-byte Folded Reload
	s_waitcnt vmcnt(2)
	v_fma_f64 v[2:3], v[8:9], v[42:43], v[2:3]
	s_waitcnt vmcnt(0)
	v_fma_f64 v[2:3], v[10:11], v[0:1], v[2:3]
	buffer_load_dword v0, off, s[40:43], 0 offset:592 ; 4-byte Folded Reload
	buffer_load_dword v1, off, s[40:43], 0 offset:596 ; 4-byte Folded Reload
	v_fma_f64 v[2:3], v[16:17], v[48:49], v[2:3]
	s_waitcnt vmcnt(0)
	v_fma_f64 v[2:3], v[18:19], v[0:1], v[2:3]
	buffer_load_dword v0, off, s[40:43], 0 offset:608 ; 4-byte Folded Reload
	buffer_load_dword v1, off, s[40:43], 0 offset:612 ; 4-byte Folded Reload
	s_waitcnt vmcnt(0)
	v_fma_f64 v[2:3], v[20:21], v[0:1], v[2:3]
	buffer_load_dword v0, off, s[40:43], 0 offset:624 ; 4-byte Folded Reload
	buffer_load_dword v1, off, s[40:43], 0 offset:628 ; 4-byte Folded Reload
	;; [unrolled: 4-line block ×3, first 2 shown]
	s_waitcnt vmcnt(0)
	v_fma_f64 v[2:3], v[28:29], v[0:1], v[2:3]
	buffer_store_dword v2, off, s[40:43], 0 offset:1616 ; 4-byte Folded Spill
	s_nop 0
	buffer_store_dword v3, off, s[40:43], 0 offset:1620 ; 4-byte Folded Spill
	buffer_load_dword v0, off, s[40:43], 0 offset:1232 ; 4-byte Folded Reload
	buffer_load_dword v1, off, s[40:43], 0 offset:1236 ; 4-byte Folded Reload
	s_waitcnt vmcnt(0)
	v_fma_f64 v[2:3], v[6:7], v[0:1], 0
	buffer_load_dword v0, off, s[40:43], 0 offset:960 ; 4-byte Folded Reload
	buffer_load_dword v1, off, s[40:43], 0 offset:964 ; 4-byte Folded Reload
	;; [unrolled: 1-line block ×4, first 2 shown]
	v_fma_f64 v[2:3], v[8:9], v[26:27], v[2:3]
	v_fma_f64 v[2:3], v[10:11], v[58:59], v[2:3]
	s_waitcnt vmcnt(2)
	v_fma_f64 v[2:3], v[16:17], v[0:1], v[2:3]
	s_waitcnt vmcnt(0)
	v_fma_f64 v[2:3], v[18:19], v[12:13], v[2:3]
	buffer_load_dword v12, off, s[40:43], 0 offset:976 ; 4-byte Folded Reload
	buffer_load_dword v13, off, s[40:43], 0 offset:980 ; 4-byte Folded Reload
	;; [unrolled: 1-line block ×4, first 2 shown]
	s_waitcnt vmcnt(2)
	v_fma_f64 v[2:3], v[20:21], v[12:13], v[2:3]
	buffer_load_dword v12, off, s[40:43], 0 offset:1032 ; 4-byte Folded Reload
	buffer_load_dword v13, off, s[40:43], 0 offset:1036 ; 4-byte Folded Reload
	s_waitcnt vmcnt(2)
	v_fma_f64 v[2:3], v[22:23], v[58:59], v[2:3]
	s_waitcnt vmcnt(0)
	v_fma_f64 v[2:3], v[28:29], v[12:13], v[2:3]
	buffer_store_dword v2, off, s[40:43], 0 offset:1624 ; 4-byte Folded Spill
	s_nop 0
	buffer_store_dword v3, off, s[40:43], 0 offset:1628 ; 4-byte Folded Spill
	buffer_load_dword v48, off, s[40:43], 0 offset:1304 ; 4-byte Folded Reload
	buffer_load_dword v49, off, s[40:43], 0 offset:1308 ; 4-byte Folded Reload
	;; [unrolled: 1-line block ×4, first 2 shown]
	s_waitcnt vmcnt(2)
	v_fma_f64 v[2:3], v[6:7], v[48:49], 0
	s_waitcnt vmcnt(0)
	v_fma_f64 v[2:3], v[8:9], v[12:13], v[2:3]
	buffer_load_dword v12, off, s[40:43], 0 offset:832 ; 4-byte Folded Reload
	buffer_load_dword v13, off, s[40:43], 0 offset:836 ; 4-byte Folded Reload
	s_waitcnt vmcnt(0)
	v_fma_f64 v[2:3], v[10:11], v[12:13], v[2:3]
	buffer_load_dword v12, off, s[40:43], 0 offset:864 ; 4-byte Folded Reload
	buffer_load_dword v13, off, s[40:43], 0 offset:868 ; 4-byte Folded Reload
	s_waitcnt vmcnt(0)
	v_fma_f64 v[2:3], v[16:17], v[12:13], v[2:3]
	buffer_load_dword v12, off, s[40:43], 0 offset:1136 ; 4-byte Folded Reload
	buffer_load_dword v13, off, s[40:43], 0 offset:1140 ; 4-byte Folded Reload
	v_fma_f64 v[2:3], v[18:19], v[4:5], v[2:3]
	v_fma_f64 v[2:3], v[20:21], v[54:55], v[2:3]
	;; [unrolled: 1-line block ×3, first 2 shown]
	s_waitcnt vmcnt(0)
	v_fma_f64 v[2:3], v[28:29], v[12:13], v[2:3]
	buffer_store_dword v2, off, s[40:43], 0 offset:1632 ; 4-byte Folded Spill
	s_nop 0
	buffer_store_dword v3, off, s[40:43], 0 offset:1636 ; 4-byte Folded Spill
	buffer_load_dword v24, off, s[40:43], 0 offset:1296 ; 4-byte Folded Reload
	buffer_load_dword v25, off, s[40:43], 0 offset:1300 ; 4-byte Folded Reload
	;; [unrolled: 1-line block ×4, first 2 shown]
	s_waitcnt vmcnt(2)
	v_fma_f64 v[2:3], v[6:7], v[24:25], 0
	s_waitcnt vmcnt(0)
	v_fma_f64 v[2:3], v[8:9], v[4:5], v[2:3]
	buffer_load_dword v4, off, s[40:43], 0 offset:1120 ; 4-byte Folded Reload
	buffer_load_dword v5, off, s[40:43], 0 offset:1124 ; 4-byte Folded Reload
	;; [unrolled: 1-line block ×6, first 2 shown]
	s_waitcnt vmcnt(4)
	v_fma_f64 v[2:3], v[10:11], v[4:5], v[2:3]
	s_waitcnt vmcnt(2)
	v_fma_f64 v[2:3], v[16:17], v[26:27], v[2:3]
	buffer_load_dword v26, off, s[40:43], 0 offset:816 ; 4-byte Folded Reload
	buffer_load_dword v27, off, s[40:43], 0 offset:820 ; 4-byte Folded Reload
	;; [unrolled: 1-line block ×4, first 2 shown]
	s_waitcnt vmcnt(4)
	v_fma_f64 v[2:3], v[18:19], v[52:53], v[2:3]
	s_waitcnt vmcnt(2)
	v_fma_f64 v[2:3], v[20:21], v[26:27], v[2:3]
	;; [unrolled: 2-line block ×3, first 2 shown]
	v_fma_f64 v[2:3], v[28:29], v[14:15], v[2:3]
	buffer_store_dword v2, off, s[40:43], 0 offset:1648 ; 4-byte Folded Spill
	s_nop 0
	buffer_store_dword v3, off, s[40:43], 0 offset:1652 ; 4-byte Folded Spill
	buffer_load_dword v14, off, s[40:43], 0 offset:1288 ; 4-byte Folded Reload
	buffer_load_dword v15, off, s[40:43], 0 offset:1292 ; 4-byte Folded Reload
	;; [unrolled: 1-line block ×4, first 2 shown]
	s_waitcnt vmcnt(2)
	v_fma_f64 v[2:3], v[6:7], v[14:15], 0
	s_waitcnt vmcnt(0)
	v_fma_f64 v[2:3], v[8:9], v[26:27], v[2:3]
	buffer_load_dword v26, off, s[40:43], 0 offset:1112 ; 4-byte Folded Reload
	buffer_load_dword v27, off, s[40:43], 0 offset:1116 ; 4-byte Folded Reload
	v_fma_f64 v[2:3], v[10:11], v[34:35], v[2:3]
	buffer_load_dword v34, off, s[40:43], 0 offset:736 ; 4-byte Folded Reload
	buffer_load_dword v35, off, s[40:43], 0 offset:740 ; 4-byte Folded Reload
	s_waitcnt vmcnt(2)
	v_fma_f64 v[2:3], v[16:17], v[26:27], v[2:3]
	buffer_load_dword v26, off, s[40:43], 0 offset:528 ; 4-byte Folded Reload
	buffer_load_dword v27, off, s[40:43], 0 offset:532 ; 4-byte Folded Reload
	s_waitcnt vmcnt(2)
	v_fma_f64 v[2:3], v[18:19], v[34:35], v[2:3]
	s_waitcnt vmcnt(0)
	v_fma_f64 v[2:3], v[20:21], v[26:27], v[2:3]
	v_fma_f64 v[2:3], v[22:23], v[30:31], v[2:3]
	;; [unrolled: 1-line block ×3, first 2 shown]
	buffer_store_dword v2, off, s[40:43], 0 offset:1984 ; 4-byte Folded Spill
	s_nop 0
	buffer_store_dword v3, off, s[40:43], 0 offset:1988 ; 4-byte Folded Spill
	buffer_load_dword v30, off, s[40:43], 0 offset:1264 ; 4-byte Folded Reload
	buffer_load_dword v31, off, s[40:43], 0 offset:1268 ; 4-byte Folded Reload
	s_waitcnt vmcnt(0)
	v_fma_f64 v[2:3], v[6:7], v[30:31], 0
	v_fma_f64 v[2:3], v[8:9], v[38:39], v[2:3]
	;; [unrolled: 1-line block ×5, first 2 shown]
	v_mov_b32_e32 v18, v36
	v_mov_b32_e32 v19, v37
	v_fma_f64 v[2:3], v[20:21], v[60:61], v[2:3]
	v_mov_b32_e32 v20, v60
	v_mov_b32_e32 v21, v61
	v_fma_f64 v[2:3], v[22:23], v[36:37], v[2:3]
	v_fma_f64 v[2:3], v[28:29], v[44:45], v[2:3]
	buffer_store_dword v2, off, s[40:43], 0 offset:1424 ; 4-byte Folded Spill
	s_nop 0
	buffer_store_dword v3, off, s[40:43], 0 offset:1428 ; 4-byte Folded Spill
	buffer_load_dword v60, off, s[40:43], 0 offset:1416 ; 4-byte Folded Reload
	buffer_load_dword v61, off, s[40:43], 0 offset:1420 ; 4-byte Folded Reload
	;; [unrolled: 1-line block ×4, first 2 shown]
	s_waitcnt vmcnt(2)
	v_fma_f64 v[2:3], v[60:61], v[50:51], 0
	buffer_load_dword v50, off, s[40:43], 0 offset:1536 ; 4-byte Folded Reload
	buffer_load_dword v51, off, s[40:43], 0 offset:1540 ; 4-byte Folded Reload
	;; [unrolled: 1-line block ×4, first 2 shown]
	s_waitcnt vmcnt(4)
	v_fma_f64 v[2:3], v[26:27], v[56:57], v[2:3]
	s_waitcnt vmcnt(0)
	v_fma_f64 v[2:3], v[50:51], v[6:7], v[2:3]
	buffer_load_dword v46, off, s[40:43], 0 offset:1528 ; 4-byte Folded Reload
	buffer_load_dword v47, off, s[40:43], 0 offset:1532 ; 4-byte Folded Reload
	buffer_load_dword v6, off, s[40:43], 0 offset:1072 ; 4-byte Folded Reload
	buffer_load_dword v7, off, s[40:43], 0 offset:1076 ; 4-byte Folded Reload
	s_waitcnt vmcnt(0)
	v_fma_f64 v[2:3], v[46:47], v[6:7], v[2:3]
	buffer_load_dword v44, off, s[40:43], 0 offset:1408 ; 4-byte Folded Reload
	buffer_load_dword v45, off, s[40:43], 0 offset:1412 ; 4-byte Folded Reload
	buffer_load_dword v6, off, s[40:43], 0 offset:1248 ; 4-byte Folded Reload
	buffer_load_dword v7, off, s[40:43], 0 offset:1252 ; 4-byte Folded Reload
	;; [unrolled: 6-line block ×6, first 2 shown]
	s_waitcnt vmcnt(2)
	v_fma_f64 v[6:7], v[60:61], v[6:7], 0
	s_waitcnt vmcnt(0)
	v_fma_f64 v[6:7], v[26:27], v[16:17], v[6:7]
	buffer_load_dword v16, off, s[40:43], 0 offset:1048 ; 4-byte Folded Reload
	buffer_load_dword v17, off, s[40:43], 0 offset:1052 ; 4-byte Folded Reload
	s_waitcnt vmcnt(0)
	v_fma_f64 v[6:7], v[50:51], v[16:17], v[6:7]
	buffer_load_dword v16, off, s[40:43], 0 offset:1056 ; 4-byte Folded Reload
	buffer_load_dword v17, off, s[40:43], 0 offset:1060 ; 4-byte Folded Reload
	;; [unrolled: 4-line block ×6, first 2 shown]
	s_waitcnt vmcnt(0)
	v_fma_f64 v[6:7], v[8:9], v[16:17], v[6:7]
	buffer_store_dword v6, off, s[40:43], 0 offset:656 ; 4-byte Folded Spill
	s_nop 0
	buffer_store_dword v7, off, s[40:43], 0 offset:660 ; 4-byte Folded Spill
	buffer_load_dword v6, off, s[40:43], 0 offset:1272 ; 4-byte Folded Reload
	s_nop 0
	buffer_load_dword v7, off, s[40:43], 0 offset:1276 ; 4-byte Folded Reload
	buffer_load_dword v16, off, s[40:43], 0 offset:992 ; 4-byte Folded Reload
	;; [unrolled: 1-line block ×3, first 2 shown]
	s_waitcnt vmcnt(2)
	v_fma_f64 v[6:7], v[60:61], v[6:7], 0
	v_fma_f64 v[6:7], v[26:27], v[42:43], v[6:7]
	s_waitcnt vmcnt(0)
	v_fma_f64 v[6:7], v[50:51], v[16:17], v[6:7]
	buffer_load_dword v16, off, s[40:43], 0 offset:1024 ; 4-byte Folded Reload
	buffer_load_dword v17, off, s[40:43], 0 offset:1028 ; 4-byte Folded Reload
	s_waitcnt vmcnt(0)
	v_fma_f64 v[6:7], v[46:47], v[16:17], v[6:7]
	buffer_load_dword v16, off, s[40:43], 0 offset:592 ; 4-byte Folded Reload
	buffer_load_dword v17, off, s[40:43], 0 offset:596 ; 4-byte Folded Reload
	;; [unrolled: 4-line block ×6, first 2 shown]
	buffer_load_dword v16, off, s[40:43], 0 offset:912 ; 4-byte Folded Reload
	buffer_load_dword v17, off, s[40:43], 0 offset:916 ; 4-byte Folded Reload
	s_waitcnt vmcnt(2)
	v_fma_f64 v[6:7], v[60:61], v[6:7], 0
	s_waitcnt vmcnt(0)
	v_fma_f64 v[6:7], v[26:27], v[16:17], v[6:7]
	buffer_load_dword v16, off, s[40:43], 0 offset:944 ; 4-byte Folded Reload
	buffer_load_dword v17, off, s[40:43], 0 offset:948 ; 4-byte Folded Reload
	s_waitcnt vmcnt(0)
	v_fma_f64 v[6:7], v[50:51], v[16:17], v[6:7]
	v_fma_f64 v[6:7], v[46:47], v[0:1], v[6:7]
	buffer_load_dword v0, off, s[40:43], 0 offset:576 ; 4-byte Folded Reload
	buffer_load_dword v1, off, s[40:43], 0 offset:580 ; 4-byte Folded Reload
	s_waitcnt vmcnt(0)
	v_fma_f64 v[6:7], v[44:45], v[0:1], v[6:7]
	buffer_load_dword v0, off, s[40:43], 0 offset:976 ; 4-byte Folded Reload
	buffer_load_dword v1, off, s[40:43], 0 offset:980 ; 4-byte Folded Reload
	s_waitcnt vmcnt(0)
	v_fma_f64 v[6:7], v[32:33], v[0:1], v[6:7]
	buffer_load_dword v0, off, s[40:43], 0 offset:1032 ; 4-byte Folded Reload
	buffer_load_dword v1, off, s[40:43], 0 offset:1036 ; 4-byte Folded Reload
	v_fma_f64 v[6:7], v[10:11], v[58:59], v[6:7]
	s_waitcnt vmcnt(0)
	v_fma_f64 v[22:23], v[8:9], v[0:1], v[6:7]
	buffer_load_dword v0, off, s[40:43], 0 offset:544 ; 4-byte Folded Reload
	buffer_load_dword v1, off, s[40:43], 0 offset:548 ; 4-byte Folded Reload
	v_fma_f64 v[6:7], v[60:61], v[48:49], 0
	s_waitcnt vmcnt(0)
	v_fma_f64 v[6:7], v[26:27], v[0:1], v[6:7]
	buffer_load_dword v0, off, s[40:43], 0 offset:832 ; 4-byte Folded Reload
	buffer_load_dword v1, off, s[40:43], 0 offset:836 ; 4-byte Folded Reload
	s_waitcnt vmcnt(0)
	v_fma_f64 v[6:7], v[50:51], v[0:1], v[6:7]
	buffer_load_dword v0, off, s[40:43], 0 offset:864 ; 4-byte Folded Reload
	buffer_load_dword v1, off, s[40:43], 0 offset:868 ; 4-byte Folded Reload
	;; [unrolled: 4-line block ×6, first 2 shown]
	v_fma_f64 v[36:37], v[8:9], v[12:13], v[6:7]
	v_fma_f64 v[6:7], v[60:61], v[24:25], 0
	s_waitcnt vmcnt(0)
	v_fma_f64 v[6:7], v[26:27], v[0:1], v[6:7]
	buffer_load_dword v0, off, s[40:43], 0 offset:1104 ; 4-byte Folded Reload
	buffer_load_dword v1, off, s[40:43], 0 offset:1108 ; 4-byte Folded Reload
	v_fma_f64 v[6:7], v[50:51], v[4:5], v[6:7]
	s_waitcnt vmcnt(0)
	v_fma_f64 v[6:7], v[46:47], v[0:1], v[6:7]
	buffer_load_dword v0, off, s[40:43], 0 offset:816 ; 4-byte Folded Reload
	buffer_load_dword v1, off, s[40:43], 0 offset:820 ; 4-byte Folded Reload
	;; [unrolled: 5-line block ×5, first 2 shown]
	s_waitcnt vmcnt(0)
	v_fma_f64 v[6:7], v[50:51], v[0:1], v[6:7]
	buffer_load_dword v0, off, s[40:43], 0 offset:1112 ; 4-byte Folded Reload
	buffer_load_dword v1, off, s[40:43], 0 offset:1116 ; 4-byte Folded Reload
	s_waitcnt vmcnt(0)
	v_fma_f64 v[6:7], v[46:47], v[0:1], v[6:7]
	buffer_load_dword v0, off, s[40:43], 0 offset:528 ; 4-byte Folded Reload
	buffer_load_dword v1, off, s[40:43], 0 offset:532 ; 4-byte Folded Reload
	v_fma_f64 v[6:7], v[44:45], v[34:35], v[6:7]
	s_waitcnt vmcnt(0)
	v_fma_f64 v[6:7], v[32:33], v[0:1], v[6:7]
	buffer_load_dword v0, off, s[40:43], 0 offset:768 ; 4-byte Folded Reload
	buffer_load_dword v1, off, s[40:43], 0 offset:772 ; 4-byte Folded Reload
	s_waitcnt vmcnt(0)
	v_fma_f64 v[6:7], v[10:11], v[0:1], v[6:7]
	buffer_load_dword v0, off, s[40:43], 0 offset:800 ; 4-byte Folded Reload
	buffer_load_dword v1, off, s[40:43], 0 offset:804 ; 4-byte Folded Reload
	;; [unrolled: 4-line block ×3, first 2 shown]
	v_fma_f64 v[6:7], v[60:61], v[30:31], 0
	v_fma_f64 v[26:27], v[26:27], v[38:39], v[6:7]
	s_waitcnt vmcnt(0)
	v_fma_f64 v[26:27], v[50:51], v[0:1], v[26:27]
	buffer_load_dword v0, off, s[40:43], 0 offset:1128 ; 4-byte Folded Reload
	buffer_load_dword v1, off, s[40:43], 0 offset:1132 ; 4-byte Folded Reload
	v_fma_f64 v[26:27], v[46:47], v[40:41], v[26:27]
	v_fma_f64 v[26:27], v[44:45], v[62:63], v[26:27]
	;; [unrolled: 1-line block ×4, first 2 shown]
	s_waitcnt vmcnt(0)
	v_fma_f64 v[26:27], v[8:9], v[0:1], v[26:27]
	buffer_load_dword v6, off, s[40:43], 0 offset:2088 ; 4-byte Folded Reload
	buffer_load_dword v7, off, s[40:43], 0 offset:2092 ; 4-byte Folded Reload
	;; [unrolled: 1-line block ×6, first 2 shown]
	s_waitcnt vmcnt(0)
	v_add_f64 v[10:11], v[6:7], v[4:5]
	buffer_load_dword v6, off, s[40:43], 0 offset:1496 ; 4-byte Folded Reload
	buffer_load_dword v7, off, s[40:43], 0 offset:1500 ; 4-byte Folded Reload
	s_waitcnt vmcnt(0)
	v_add_f64 v[12:13], v[8:9], v[6:7]
	buffer_store_dword v10, off, s[40:43], 0 offset:1008 ; 4-byte Folded Spill
	s_nop 0
	buffer_store_dword v11, off, s[40:43], 0 offset:1012 ; 4-byte Folded Spill
	buffer_store_dword v12, off, s[40:43], 0 offset:1016 ; 4-byte Folded Spill
	;; [unrolled: 1-line block ×3, first 2 shown]
	buffer_load_dword v6, off, s[40:43], 0 offset:2072 ; 4-byte Folded Reload
	buffer_load_dword v7, off, s[40:43], 0 offset:2076 ; 4-byte Folded Reload
	;; [unrolled: 1-line block ×8, first 2 shown]
	s_waitcnt vmcnt(2)
	v_add_f64 v[4:5], v[6:7], v[4:5]
	s_waitcnt vmcnt(0)
	v_add_f64 v[6:7], v[8:9], v[0:1]
	buffer_store_dword v4, off, s[40:43], 0 offset:688 ; 4-byte Folded Spill
	s_nop 0
	buffer_store_dword v5, off, s[40:43], 0 offset:692 ; 4-byte Folded Spill
	buffer_store_dword v6, off, s[40:43], 0 offset:696 ; 4-byte Folded Spill
	buffer_store_dword v7, off, s[40:43], 0 offset:700 ; 4-byte Folded Spill
	buffer_load_dword v6, off, s[40:43], 0 offset:2056 ; 4-byte Folded Reload
	s_nop 0
	buffer_load_dword v7, off, s[40:43], 0 offset:2060 ; 4-byte Folded Reload
	buffer_load_dword v8, off, s[40:43], 0 offset:2064 ; 4-byte Folded Reload
	;; [unrolled: 1-line block ×5, first 2 shown]
	s_waitcnt vmcnt(0)
	v_add_f64 v[6:7], v[6:7], v[0:1]
	buffer_load_dword v0, off, s[40:43], 0 offset:1640 ; 4-byte Folded Reload
	buffer_load_dword v1, off, s[40:43], 0 offset:1644 ; 4-byte Folded Reload
	s_waitcnt vmcnt(0)
	v_add_f64 v[8:9], v[8:9], v[0:1]
	buffer_store_dword v6, off, s[40:43], 0 offset:976 ; 4-byte Folded Spill
	s_nop 0
	buffer_store_dword v7, off, s[40:43], 0 offset:980 ; 4-byte Folded Spill
	buffer_store_dword v8, off, s[40:43], 0 offset:984 ; 4-byte Folded Spill
	;; [unrolled: 1-line block ×3, first 2 shown]
	buffer_load_dword v6, off, s[40:43], 0 offset:2040 ; 4-byte Folded Reload
	s_nop 0
	buffer_load_dword v7, off, s[40:43], 0 offset:2044 ; 4-byte Folded Reload
	buffer_load_dword v8, off, s[40:43], 0 offset:2048 ; 4-byte Folded Reload
	;; [unrolled: 1-line block ×5, first 2 shown]
	s_waitcnt vmcnt(2)
	v_add_f64 v[2:3], v[8:9], v[2:3]
	s_waitcnt vmcnt(0)
	v_add_f64 v[0:1], v[6:7], v[0:1]
	buffer_store_dword v0, off, s[40:43], 0 offset:960 ; 4-byte Folded Spill
	s_nop 0
	buffer_store_dword v1, off, s[40:43], 0 offset:964 ; 4-byte Folded Spill
	buffer_store_dword v2, off, s[40:43], 0 offset:968 ; 4-byte Folded Spill
	;; [unrolled: 1-line block ×3, first 2 shown]
	buffer_load_dword v0, off, s[40:43], 0 offset:2152 ; 4-byte Folded Reload
	s_nop 0
	buffer_load_dword v1, off, s[40:43], 0 offset:2156 ; 4-byte Folded Reload
	buffer_load_dword v2, off, s[40:43], 0 offset:2160 ; 4-byte Folded Reload
	;; [unrolled: 1-line block ×5, first 2 shown]
	s_waitcnt vmcnt(0)
	v_add_f64 v[4:5], v[0:1], v[4:5]
	buffer_load_dword v0, off, s[40:43], 0 offset:1504 ; 4-byte Folded Reload
	buffer_load_dword v1, off, s[40:43], 0 offset:1508 ; 4-byte Folded Reload
	s_waitcnt vmcnt(0)
	v_add_f64 v[6:7], v[2:3], v[0:1]
	buffer_store_dword v4, off, s[40:43], 0 offset:944 ; 4-byte Folded Spill
	s_nop 0
	buffer_store_dword v5, off, s[40:43], 0 offset:948 ; 4-byte Folded Spill
	buffer_store_dword v6, off, s[40:43], 0 offset:952 ; 4-byte Folded Spill
	;; [unrolled: 1-line block ×3, first 2 shown]
	buffer_load_dword v0, off, s[40:43], 0 offset:2136 ; 4-byte Folded Reload
	buffer_load_dword v1, off, s[40:43], 0 offset:2140 ; 4-byte Folded Reload
	;; [unrolled: 1-line block ×4, first 2 shown]
	s_nop 0
	buffer_load_dword v4, off, s[40:43], 0 offset:1480 ; 4-byte Folded Reload
	buffer_load_dword v5, off, s[40:43], 0 offset:1484 ; 4-byte Folded Reload
	s_waitcnt vmcnt(0)
	v_add_f64 v[0:1], v[0:1], v[4:5]
	buffer_load_dword v4, off, s[40:43], 0 offset:1752 ; 4-byte Folded Reload
	buffer_load_dword v5, off, s[40:43], 0 offset:1756 ; 4-byte Folded Reload
	s_waitcnt vmcnt(0)
	v_add_f64 v[2:3], v[2:3], v[4:5]
	buffer_store_dword v0, off, s[40:43], 0 offset:928 ; 4-byte Folded Spill
	s_nop 0
	buffer_store_dword v1, off, s[40:43], 0 offset:932 ; 4-byte Folded Spill
	buffer_store_dword v2, off, s[40:43], 0 offset:936 ; 4-byte Folded Spill
	;; [unrolled: 1-line block ×3, first 2 shown]
	buffer_load_dword v44, off, s[40:43], 0 offset:2120 ; 4-byte Folded Reload
	buffer_load_dword v45, off, s[40:43], 0 offset:2124 ; 4-byte Folded Reload
	buffer_load_dword v46, off, s[40:43], 0 offset:2128 ; 4-byte Folded Reload
	buffer_load_dword v47, off, s[40:43], 0 offset:2132 ; 4-byte Folded Reload
	s_nop 0
	buffer_load_dword v0, off, s[40:43], 0 offset:1704 ; 4-byte Folded Reload
	buffer_load_dword v1, off, s[40:43], 0 offset:1708 ; 4-byte Folded Reload
	;; [unrolled: 1-line block ×4, first 2 shown]
	s_waitcnt vmcnt(2)
	v_add_f64 v[0:1], v[44:45], v[0:1]
	s_waitcnt vmcnt(0)
	v_add_f64 v[2:3], v[46:47], v[2:3]
	buffer_store_dword v0, off, s[40:43], 0 offset:912 ; 4-byte Folded Spill
	s_nop 0
	buffer_store_dword v1, off, s[40:43], 0 offset:916 ; 4-byte Folded Spill
	buffer_store_dword v2, off, s[40:43], 0 offset:920 ; 4-byte Folded Spill
	buffer_store_dword v3, off, s[40:43], 0 offset:924 ; 4-byte Folded Spill
	buffer_load_dword v0, off, s[40:43], 0 offset:2104 ; 4-byte Folded Reload
	s_nop 0
	buffer_load_dword v1, off, s[40:43], 0 offset:2108 ; 4-byte Folded Reload
	buffer_load_dword v2, off, s[40:43], 0 offset:2112 ; 4-byte Folded Reload
	buffer_load_dword v3, off, s[40:43], 0 offset:2116 ; 4-byte Folded Reload
	buffer_load_dword v4, off, s[40:43], 0 offset:1608 ; 4-byte Folded Reload
	buffer_load_dword v5, off, s[40:43], 0 offset:1612 ; 4-byte Folded Reload
	s_waitcnt vmcnt(0)
	v_add_f64 v[0:1], v[0:1], v[4:5]
	buffer_load_dword v4, off, s[40:43], 0 offset:656 ; 4-byte Folded Reload
	buffer_load_dword v5, off, s[40:43], 0 offset:660 ; 4-byte Folded Reload
	s_waitcnt vmcnt(0)
	v_add_f64 v[2:3], v[2:3], v[4:5]
	buffer_store_dword v0, off, s[40:43], 0 offset:896 ; 4-byte Folded Spill
	s_nop 0
	buffer_store_dword v1, off, s[40:43], 0 offset:900 ; 4-byte Folded Spill
	buffer_store_dword v2, off, s[40:43], 0 offset:904 ; 4-byte Folded Spill
	buffer_store_dword v3, off, s[40:43], 0 offset:908 ; 4-byte Folded Spill
	buffer_load_dword v0, off, s[40:43], 0 offset:2216 ; 4-byte Folded Reload
	s_nop 0
	buffer_load_dword v1, off, s[40:43], 0 offset:2220 ; 4-byte Folded Reload
	buffer_load_dword v2, off, s[40:43], 0 offset:2224 ; 4-byte Folded Reload
	buffer_load_dword v3, off, s[40:43], 0 offset:2228 ; 4-byte Folded Reload
	buffer_load_dword v4, off, s[40:43], 0 offset:1952 ; 4-byte Folded Reload
	buffer_load_dword v5, off, s[40:43], 0 offset:1956 ; 4-byte Folded Reload
	s_waitcnt vmcnt(0)
	v_add_f64 v[0:1], v[0:1], v[4:5]
	buffer_load_dword v4, off, s[40:43], 0 offset:1512 ; 4-byte Folded Reload
	buffer_load_dword v5, off, s[40:43], 0 offset:1516 ; 4-byte Folded Reload
	;; [unrolled: 18-line block ×4, first 2 shown]
	s_waitcnt vmcnt(0)
	v_add_f64 v[2:3], v[2:3], v[4:5]
	buffer_store_dword v0, off, s[40:43], 0 offset:560 ; 4-byte Folded Spill
	s_nop 0
	buffer_store_dword v1, off, s[40:43], 0 offset:564 ; 4-byte Folded Spill
	buffer_store_dword v2, off, s[40:43], 0 offset:568 ; 4-byte Folded Spill
	;; [unrolled: 1-line block ×3, first 2 shown]
	buffer_load_dword v0, off, s[40:43], 0 offset:2168 ; 4-byte Folded Reload
	s_nop 0
	buffer_load_dword v1, off, s[40:43], 0 offset:2172 ; 4-byte Folded Reload
	buffer_load_dword v2, off, s[40:43], 0 offset:2176 ; 4-byte Folded Reload
	;; [unrolled: 1-line block ×5, first 2 shown]
	s_waitcnt vmcnt(2)
	v_add_f64 v[2:3], v[2:3], v[28:29]
	s_waitcnt vmcnt(0)
	v_add_f64 v[0:1], v[0:1], v[4:5]
	buffer_store_dword v0, off, s[40:43], 0 offset:528 ; 4-byte Folded Spill
	s_nop 0
	buffer_store_dword v1, off, s[40:43], 0 offset:532 ; 4-byte Folded Spill
	buffer_store_dword v2, off, s[40:43], 0 offset:536 ; 4-byte Folded Spill
	;; [unrolled: 1-line block ×3, first 2 shown]
	buffer_load_dword v0, off, s[40:43], 0 offset:2280 ; 4-byte Folded Reload
	s_nop 0
	buffer_load_dword v1, off, s[40:43], 0 offset:2284 ; 4-byte Folded Reload
	buffer_load_dword v2, off, s[40:43], 0 offset:2288 ; 4-byte Folded Reload
	;; [unrolled: 1-line block ×5, first 2 shown]
	s_waitcnt vmcnt(0)
	v_add_f64 v[0:1], v[0:1], v[4:5]
	buffer_load_dword v4, off, s[40:43], 0 offset:1816 ; 4-byte Folded Reload
	buffer_load_dword v5, off, s[40:43], 0 offset:1820 ; 4-byte Folded Reload
	s_waitcnt vmcnt(0)
	v_add_f64 v[2:3], v[2:3], v[4:5]
	buffer_store_dword v0, off, s[40:43], 0 offset:672 ; 4-byte Folded Spill
	s_nop 0
	buffer_store_dword v1, off, s[40:43], 0 offset:676 ; 4-byte Folded Spill
	buffer_store_dword v2, off, s[40:43], 0 offset:680 ; 4-byte Folded Spill
	buffer_store_dword v3, off, s[40:43], 0 offset:684 ; 4-byte Folded Spill
	buffer_load_dword v0, off, s[40:43], 0 offset:2264 ; 4-byte Folded Reload
	s_nop 0
	buffer_load_dword v1, off, s[40:43], 0 offset:2268 ; 4-byte Folded Reload
	buffer_load_dword v2, off, s[40:43], 0 offset:2272 ; 4-byte Folded Reload
	;; [unrolled: 1-line block ×5, first 2 shown]
	s_waitcnt vmcnt(0)
	v_add_f64 v[8:9], v[0:1], v[4:5]
	buffer_load_dword v0, off, s[40:43], 0 offset:1768 ; 4-byte Folded Reload
	buffer_load_dword v1, off, s[40:43], 0 offset:1772 ; 4-byte Folded Reload
	s_waitcnt vmcnt(0)
	v_add_f64 v[10:11], v[2:3], v[0:1]
	buffer_load_dword v0, off, s[40:43], 0 offset:2248 ; 4-byte Folded Reload
	buffer_load_dword v1, off, s[40:43], 0 offset:2252 ; 4-byte Folded Reload
	;; [unrolled: 1-line block ×6, first 2 shown]
	s_waitcnt vmcnt(0)
	v_add_f64 v[0:1], v[0:1], v[4:5]
	buffer_load_dword v4, off, s[40:43], 0 offset:1672 ; 4-byte Folded Reload
	buffer_load_dword v5, off, s[40:43], 0 offset:1676 ; 4-byte Folded Reload
	s_waitcnt vmcnt(0)
	v_add_f64 v[2:3], v[2:3], v[4:5]
	buffer_store_dword v0, off, s[40:43], 0 offset:704 ; 4-byte Folded Spill
	s_nop 0
	buffer_store_dword v1, off, s[40:43], 0 offset:708 ; 4-byte Folded Spill
	buffer_store_dword v2, off, s[40:43], 0 offset:712 ; 4-byte Folded Spill
	;; [unrolled: 1-line block ×3, first 2 shown]
	buffer_load_dword v0, off, s[40:43], 0 offset:2232 ; 4-byte Folded Reload
	s_nop 0
	buffer_load_dword v1, off, s[40:43], 0 offset:2236 ; 4-byte Folded Reload
	buffer_load_dword v2, off, s[40:43], 0 offset:2240 ; 4-byte Folded Reload
	;; [unrolled: 1-line block ×5, first 2 shown]
	s_waitcnt vmcnt(2)
	v_add_f64 v[2:3], v[2:3], v[22:23]
	s_waitcnt vmcnt(0)
	v_add_f64 v[0:1], v[0:1], v[4:5]
	buffer_store_dword v0, off, s[40:43], 0 offset:512 ; 4-byte Folded Spill
	s_nop 0
	buffer_store_dword v1, off, s[40:43], 0 offset:516 ; 4-byte Folded Spill
	buffer_store_dword v2, off, s[40:43], 0 offset:520 ; 4-byte Folded Spill
	;; [unrolled: 1-line block ×3, first 2 shown]
	buffer_load_dword v0, off, s[40:43], 0 offset:2344 ; 4-byte Folded Reload
	s_nop 0
	buffer_load_dword v1, off, s[40:43], 0 offset:2348 ; 4-byte Folded Reload
	buffer_load_dword v2, off, s[40:43], 0 offset:2352 ; 4-byte Folded Reload
	;; [unrolled: 1-line block ×5, first 2 shown]
	s_waitcnt vmcnt(0)
	v_add_f64 v[0:1], v[0:1], v[4:5]
	buffer_load_dword v4, off, s[40:43], 0 offset:1832 ; 4-byte Folded Reload
	buffer_load_dword v5, off, s[40:43], 0 offset:1836 ; 4-byte Folded Reload
	s_waitcnt vmcnt(0)
	v_add_f64 v[2:3], v[2:3], v[4:5]
	buffer_store_dword v0, off, s[40:43], 0 offset:592 ; 4-byte Folded Spill
	s_nop 0
	buffer_store_dword v1, off, s[40:43], 0 offset:596 ; 4-byte Folded Spill
	buffer_store_dword v2, off, s[40:43], 0 offset:600 ; 4-byte Folded Spill
	buffer_store_dword v3, off, s[40:43], 0 offset:604 ; 4-byte Folded Spill
	buffer_load_dword v0, off, s[40:43], 0 offset:2328 ; 4-byte Folded Reload
	s_nop 0
	buffer_load_dword v1, off, s[40:43], 0 offset:2332 ; 4-byte Folded Reload
	buffer_load_dword v2, off, s[40:43], 0 offset:2336 ; 4-byte Folded Reload
	;; [unrolled: 1-line block ×5, first 2 shown]
	s_waitcnt vmcnt(0)
	v_add_f64 v[49:50], v[0:1], v[4:5]
	buffer_load_dword v0, off, s[40:43], 0 offset:1776 ; 4-byte Folded Reload
	buffer_load_dword v1, off, s[40:43], 0 offset:1780 ; 4-byte Folded Reload
	s_waitcnt vmcnt(0)
	v_add_f64 v[51:52], v[2:3], v[0:1]
	buffer_load_dword v0, off, s[40:43], 0 offset:2312 ; 4-byte Folded Reload
	buffer_load_dword v1, off, s[40:43], 0 offset:2316 ; 4-byte Folded Reload
	;; [unrolled: 1-line block ×6, first 2 shown]
	s_waitcnt vmcnt(0)
	v_add_f64 v[42:43], v[0:1], v[4:5]
	buffer_load_dword v0, off, s[40:43], 0 offset:1680 ; 4-byte Folded Reload
	buffer_load_dword v1, off, s[40:43], 0 offset:1684 ; 4-byte Folded Reload
	s_waitcnt vmcnt(0)
	v_add_f64 v[44:45], v[2:3], v[0:1]
	buffer_load_dword v0, off, s[40:43], 0 offset:2296 ; 4-byte Folded Reload
	buffer_load_dword v1, off, s[40:43], 0 offset:2300 ; 4-byte Folded Reload
	buffer_load_dword v2, off, s[40:43], 0 offset:2304 ; 4-byte Folded Reload
	buffer_load_dword v3, off, s[40:43], 0 offset:2308 ; 4-byte Folded Reload
	buffer_load_dword v4, off, s[40:43], 0 offset:1632 ; 4-byte Folded Reload
	buffer_load_dword v5, off, s[40:43], 0 offset:1636 ; 4-byte Folded Reload
	s_waitcnt vmcnt(2)
	v_add_f64 v[36:37], v[2:3], v[36:37]
	s_waitcnt vmcnt(0)
	v_add_f64 v[34:35], v[0:1], v[4:5]
	buffer_load_dword v0, off, s[40:43], 0 offset:2408 ; 4-byte Folded Reload
	buffer_load_dword v1, off, s[40:43], 0 offset:2412 ; 4-byte Folded Reload
	;; [unrolled: 1-line block ×6, first 2 shown]
	s_waitcnt vmcnt(0)
	v_add_f64 v[0:1], v[0:1], v[4:5]
	buffer_load_dword v4, off, s[40:43], 0 offset:1872 ; 4-byte Folded Reload
	buffer_load_dword v5, off, s[40:43], 0 offset:1876 ; 4-byte Folded Reload
	s_waitcnt vmcnt(0)
	v_add_f64 v[2:3], v[2:3], v[4:5]
	buffer_store_dword v0, off, s[40:43], 0 offset:656 ; 4-byte Folded Spill
	s_nop 0
	buffer_store_dword v1, off, s[40:43], 0 offset:660 ; 4-byte Folded Spill
	buffer_store_dword v2, off, s[40:43], 0 offset:664 ; 4-byte Folded Spill
	buffer_store_dword v3, off, s[40:43], 0 offset:668 ; 4-byte Folded Spill
	buffer_load_dword v0, off, s[40:43], 0 offset:2392 ; 4-byte Folded Reload
	s_nop 0
	buffer_load_dword v1, off, s[40:43], 0 offset:2396 ; 4-byte Folded Reload
	buffer_load_dword v2, off, s[40:43], 0 offset:2400 ; 4-byte Folded Reload
	buffer_load_dword v3, off, s[40:43], 0 offset:2404 ; 4-byte Folded Reload
	buffer_load_dword v4, off, s[40:43], 0 offset:1824 ; 4-byte Folded Reload
	buffer_load_dword v5, off, s[40:43], 0 offset:1828 ; 4-byte Folded Reload
	s_waitcnt vmcnt(0)
	v_add_f64 v[0:1], v[0:1], v[4:5]
	buffer_load_dword v4, off, s[40:43], 0 offset:1792 ; 4-byte Folded Reload
	buffer_load_dword v5, off, s[40:43], 0 offset:1796 ; 4-byte Folded Reload
	s_waitcnt vmcnt(0)
	v_add_f64 v[2:3], v[2:3], v[4:5]
	buffer_store_dword v0, off, s[40:43], 0 offset:640 ; 4-byte Folded Spill
	s_nop 0
	buffer_store_dword v1, off, s[40:43], 0 offset:644 ; 4-byte Folded Spill
	buffer_store_dword v2, off, s[40:43], 0 offset:648 ; 4-byte Folded Spill
	buffer_store_dword v3, off, s[40:43], 0 offset:652 ; 4-byte Folded Spill
	buffer_load_dword v0, off, s[40:43], 0 offset:2376 ; 4-byte Folded Reload
	s_nop 0
	buffer_load_dword v1, off, s[40:43], 0 offset:2380 ; 4-byte Folded Reload
	buffer_load_dword v2, off, s[40:43], 0 offset:2384 ; 4-byte Folded Reload
	buffer_load_dword v3, off, s[40:43], 0 offset:2388 ; 4-byte Folded Reload
	buffer_load_dword v4, off, s[40:43], 0 offset:1744 ; 4-byte Folded Reload
	buffer_load_dword v5, off, s[40:43], 0 offset:1748 ; 4-byte Folded Reload
	;; [unrolled: 18-line block ×3, first 2 shown]
	s_waitcnt vmcnt(2)
	v_add_f64 v[6:7], v[2:3], v[24:25]
	s_waitcnt vmcnt(0)
	v_add_f64 v[4:5], v[0:1], v[4:5]
	buffer_load_dword v0, off, s[40:43], 0 offset:2472 ; 4-byte Folded Reload
	buffer_load_dword v1, off, s[40:43], 0 offset:2476 ; 4-byte Folded Reload
	buffer_load_dword v2, off, s[40:43], 0 offset:2480 ; 4-byte Folded Reload
	buffer_load_dword v3, off, s[40:43], 0 offset:2484 ; 4-byte Folded Reload
	buffer_load_dword v12, off, s[40:43], 0 offset:1864 ; 4-byte Folded Reload
	buffer_load_dword v13, off, s[40:43], 0 offset:1868 ; 4-byte Folded Reload
	s_waitcnt vmcnt(0)
	v_add_f64 v[0:1], v[0:1], v[12:13]
	buffer_load_dword v12, off, s[40:43], 0 offset:1840 ; 4-byte Folded Reload
	buffer_load_dword v13, off, s[40:43], 0 offset:1844 ; 4-byte Folded Reload
	s_waitcnt vmcnt(0)
	v_add_f64 v[2:3], v[2:3], v[12:13]
	buffer_store_dword v0, off, s[40:43], 0 offset:608 ; 4-byte Folded Spill
	s_nop 0
	buffer_store_dword v1, off, s[40:43], 0 offset:612 ; 4-byte Folded Spill
	buffer_store_dword v2, off, s[40:43], 0 offset:616 ; 4-byte Folded Spill
	;; [unrolled: 1-line block ×3, first 2 shown]
	buffer_load_dword v0, off, s[40:43], 0 offset:2456 ; 4-byte Folded Reload
	s_nop 0
	buffer_load_dword v1, off, s[40:43], 0 offset:2460 ; 4-byte Folded Reload
	buffer_load_dword v2, off, s[40:43], 0 offset:2464 ; 4-byte Folded Reload
	;; [unrolled: 1-line block ×5, first 2 shown]
	s_waitcnt vmcnt(0)
	v_add_f64 v[0:1], v[0:1], v[12:13]
	buffer_load_dword v12, off, s[40:43], 0 offset:1976 ; 4-byte Folded Reload
	buffer_load_dword v13, off, s[40:43], 0 offset:1980 ; 4-byte Folded Reload
	s_waitcnt vmcnt(0)
	v_add_f64 v[2:3], v[2:3], v[12:13]
	buffer_store_dword v0, off, s[40:43], 0 offset:864 ; 4-byte Folded Spill
	s_nop 0
	buffer_store_dword v1, off, s[40:43], 0 offset:868 ; 4-byte Folded Spill
	buffer_store_dword v2, off, s[40:43], 0 offset:872 ; 4-byte Folded Spill
	;; [unrolled: 1-line block ×3, first 2 shown]
	buffer_load_dword v0, off, s[40:43], 0 offset:2440 ; 4-byte Folded Reload
	s_nop 0
	buffer_load_dword v1, off, s[40:43], 0 offset:2444 ; 4-byte Folded Reload
	buffer_load_dword v2, off, s[40:43], 0 offset:2448 ; 4-byte Folded Reload
	;; [unrolled: 1-line block ×5, first 2 shown]
	s_waitcnt vmcnt(0)
	v_add_f64 v[22:23], v[0:1], v[12:13]
	buffer_load_dword v0, off, s[40:43], 0 offset:1696 ; 4-byte Folded Reload
	buffer_load_dword v1, off, s[40:43], 0 offset:1700 ; 4-byte Folded Reload
	s_waitcnt vmcnt(0)
	v_add_f64 v[24:25], v[2:3], v[0:1]
	buffer_load_dword v0, off, s[40:43], 0 offset:2424 ; 4-byte Folded Reload
	buffer_load_dword v1, off, s[40:43], 0 offset:2428 ; 4-byte Folded Reload
	;; [unrolled: 1-line block ×6, first 2 shown]
	s_waitcnt vmcnt(2)
	v_add_f64 v[20:21], v[2:3], v[16:17]
	s_waitcnt vmcnt(0)
	v_add_f64 v[18:19], v[0:1], v[12:13]
	buffer_load_dword v0, off, s[40:43], 0 offset:2536 ; 4-byte Folded Reload
	buffer_load_dword v1, off, s[40:43], 0 offset:2540 ; 4-byte Folded Reload
	buffer_load_dword v2, off, s[40:43], 0 offset:2544 ; 4-byte Folded Reload
	buffer_load_dword v3, off, s[40:43], 0 offset:2548 ; 4-byte Folded Reload
	buffer_load_dword v12, off, s[40:43], 0 offset:1488 ; 4-byte Folded Reload
	buffer_load_dword v13, off, s[40:43], 0 offset:1492 ; 4-byte Folded Reload
	s_waitcnt vmcnt(0)
	v_add_f64 v[0:1], v[0:1], v[12:13]
	buffer_load_dword v12, off, s[40:43], 0 offset:1464 ; 4-byte Folded Reload
	buffer_load_dword v13, off, s[40:43], 0 offset:1468 ; 4-byte Folded Reload
	s_waitcnt vmcnt(0)
	v_add_f64 v[2:3], v[2:3], v[12:13]
	buffer_store_dword v0, off, s[40:43], 0 offset:816 ; 4-byte Folded Spill
	s_nop 0
	buffer_store_dword v1, off, s[40:43], 0 offset:820 ; 4-byte Folded Spill
	buffer_store_dword v2, off, s[40:43], 0 offset:824 ; 4-byte Folded Spill
	buffer_store_dword v3, off, s[40:43], 0 offset:828 ; 4-byte Folded Spill
	buffer_load_dword v0, off, s[40:43], 0 offset:2520 ; 4-byte Folded Reload
	s_nop 0
	buffer_load_dword v1, off, s[40:43], 0 offset:2524 ; 4-byte Folded Reload
	buffer_load_dword v2, off, s[40:43], 0 offset:2528 ; 4-byte Folded Reload
	buffer_load_dword v3, off, s[40:43], 0 offset:2532 ; 4-byte Folded Reload
	buffer_load_dword v12, off, s[40:43], 0 offset:1456 ; 4-byte Folded Reload
	buffer_load_dword v13, off, s[40:43], 0 offset:1460 ; 4-byte Folded Reload
	s_waitcnt vmcnt(0)
	v_add_f64 v[0:1], v[0:1], v[12:13]
	buffer_load_dword v12, off, s[40:43], 0 offset:1448 ; 4-byte Folded Reload
	buffer_load_dword v13, off, s[40:43], 0 offset:1452 ; 4-byte Folded Reload
	s_waitcnt vmcnt(0)
	v_add_f64 v[2:3], v[2:3], v[12:13]
	buffer_store_dword v0, off, s[40:43], 0 offset:800 ; 4-byte Folded Spill
	s_nop 0
	buffer_store_dword v1, off, s[40:43], 0 offset:804 ; 4-byte Folded Spill
	buffer_store_dword v2, off, s[40:43], 0 offset:808 ; 4-byte Folded Spill
	buffer_store_dword v3, off, s[40:43], 0 offset:812 ; 4-byte Folded Spill
	buffer_load_dword v0, off, s[40:43], 0 offset:2504 ; 4-byte Folded Reload
	s_nop 0
	buffer_load_dword v1, off, s[40:43], 0 offset:2508 ; 4-byte Folded Reload
	buffer_load_dword v2, off, s[40:43], 0 offset:2512 ; 4-byte Folded Reload
	buffer_load_dword v3, off, s[40:43], 0 offset:2516 ; 4-byte Folded Reload
	buffer_load_dword v12, off, s[40:43], 0 offset:1440 ; 4-byte Folded Reload
	buffer_load_dword v13, off, s[40:43], 0 offset:1444 ; 4-byte Folded Reload
	;; [unrolled: 18-line block ×3, first 2 shown]
	s_waitcnt vmcnt(2)
	v_add_f64 v[40:41], v[2:3], v[26:27]
	buffer_load_dword v2, off, s[40:43], 0 offset:1904 ; 4-byte Folded Reload
	buffer_load_dword v3, off, s[40:43], 0 offset:1908 ; 4-byte Folded Reload
	;; [unrolled: 1-line block ×6, first 2 shown]
	s_waitcnt vmcnt(6)
	v_add_f64 v[38:39], v[0:1], v[12:13]
	s_waitcnt vmcnt(5)
	v_add_co_u32_e32 v2, vcc, 8, v2
	s_waitcnt vmcnt(4)
	v_addc_co_u32_e32 v3, vcc, 0, v3, vcc
	s_waitcnt vmcnt(3)
	v_add_co_u32_e32 v30, vcc, 8, v30
	s_waitcnt vmcnt(2)
	v_addc_co_u32_e32 v31, vcc, 0, v31, vcc
	;; [unrolled: 4-line block ×3, first 2 shown]
	s_cbranch_scc1 .LBB0_37
; %bb.36:                               ;   in Loop: Header=BB0_21 Depth=1
	buffer_store_dword v42, off, s[40:43], 0 offset:768 ; 4-byte Folded Spill
	s_nop 0
	buffer_store_dword v43, off, s[40:43], 0 offset:772 ; 4-byte Folded Spill
	buffer_store_dword v44, off, s[40:43], 0 offset:776 ; 4-byte Folded Spill
	buffer_store_dword v45, off, s[40:43], 0 offset:780 ; 4-byte Folded Spill
	buffer_load_dword v53, off, s[40:43], 0 offset:272 ; 4-byte Folded Reload
	buffer_load_dword v54, off, s[40:43], 0 offset:276 ; 4-byte Folded Reload
	;; [unrolled: 1-line block ×4, first 2 shown]
	s_branch .LBB0_21
.LBB0_37:
	buffer_store_dword v8, off, s[40:43], 0 offset:752 ; 4-byte Folded Spill
	s_nop 0
	buffer_store_dword v9, off, s[40:43], 0 offset:756 ; 4-byte Folded Spill
	buffer_store_dword v10, off, s[40:43], 0 offset:760 ; 4-byte Folded Spill
	;; [unrolled: 1-line block ×4, first 2 shown]
	s_nop 0
	buffer_store_dword v5, off, s[40:43], 0 offset:740 ; 4-byte Folded Spill
	buffer_store_dword v6, off, s[40:43], 0 offset:744 ; 4-byte Folded Spill
	;; [unrolled: 1-line block ×3, first 2 shown]
	buffer_load_dword v10, off, s[40:43], 0 offset:272 ; 4-byte Folded Reload
	buffer_load_dword v11, off, s[40:43], 0 offset:276 ; 4-byte Folded Reload
	;; [unrolled: 1-line block ×22, first 2 shown]
	s_branch .LBB0_39
.LBB0_38:
	buffer_load_dword v38, off, s[40:43], 0 offset:992 ; 4-byte Folded Reload
	buffer_load_dword v39, off, s[40:43], 0 offset:996 ; 4-byte Folded Reload
	;; [unrolled: 1-line block ×12, first 2 shown]
.LBB0_39:
	s_nop 0
	buffer_store_dword v49, off, s[40:43], 0 offset:880 ; 4-byte Folded Spill
	s_nop 0
	buffer_store_dword v50, off, s[40:43], 0 offset:884 ; 4-byte Folded Spill
	buffer_store_dword v51, off, s[40:43], 0 offset:888 ; 4-byte Folded Spill
	;; [unrolled: 1-line block ×3, first 2 shown]
	s_waitcnt vmcnt(7)
	buffer_store_dword v42, off, s[40:43], 0 offset:768 ; 4-byte Folded Spill
	s_waitcnt vmcnt(7)
	buffer_store_dword v43, off, s[40:43], 0 offset:772 ; 4-byte Folded Spill
	;; [unrolled: 2-line block ×4, first 2 shown]
	buffer_store_dword v34, off, s[40:43], 0 offset:576 ; 4-byte Folded Spill
	s_nop 0
	buffer_store_dword v35, off, s[40:43], 0 offset:580 ; 4-byte Folded Spill
	buffer_store_dword v36, off, s[40:43], 0 offset:584 ; 4-byte Folded Spill
	buffer_store_dword v37, off, s[40:43], 0 offset:588 ; 4-byte Folded Spill
	buffer_store_dword v22, off, s[40:43], 0 offset:848 ; 4-byte Folded Spill
	s_nop 0
	buffer_store_dword v23, off, s[40:43], 0 offset:852 ; 4-byte Folded Spill
	buffer_store_dword v24, off, s[40:43], 0 offset:856 ; 4-byte Folded Spill
	buffer_store_dword v25, off, s[40:43], 0 offset:860 ; 4-byte Folded Spill
	;; [unrolled: 5-line block ×4, first 2 shown]
; %bb.40:
	v_mov_b32_e32 v1, s9
	v_add_co_u32_e32 v0, vcc, s8, v3
	v_addc_co_u32_e32 v1, vcc, v1, v4, vcc
	s_cmp_lt_i32 s3, 1
	global_store_dwordx2 v[0:1], v[5:6], off
	s_cbranch_scc1 .LBB0_53
; %bb.41:
	v_mul_lo_u32 v0, v2, s3
	s_load_dword s8, s[4:5], 0x78
	s_load_dwordx2 s[0:1], s[4:5], 0x80
	v_mov_b32_e32 v14, s7
	s_cmp_lg_u32 s3, 0
	v_ashrrev_i32_e32 v1, 31, v0
	v_lshlrev_b64 v[0:1], 3, v[0:1]
	v_add_co_u32_e32 v15, vcc, s6, v0
	v_addc_co_u32_e32 v14, vcc, v14, v1, vcc
	s_cselect_b64 vcc, -1, 0
	v_cndmask_b32_e32 v5, 0, v14, vcc
	v_cndmask_b32_e32 v4, 0, v15, vcc
	s_waitcnt lgkmcnt(0)
	v_mov_b32_e32 v14, s1
	v_add_co_u32_e32 v0, vcc, s0, v0
	s_bitcmp1_b32 s8, 0
	v_addc_co_u32_e32 v1, vcc, v14, v1, vcc
	s_cselect_b64 s[4:5], -1, 0
	s_cmp_lg_u32 s2, 0
	buffer_store_dword v0, off, s[40:43], 0 offset:1024 ; 4-byte Folded Spill
	s_nop 0
	buffer_store_dword v1, off, s[40:43], 0 offset:1028 ; 4-byte Folded Spill
	s_cselect_b64 s[0:1], -1, 0
	v_cndmask_b32_e64 v0, 0, 1, s[0:1]
	v_cmp_ne_u32_e64 s[0:1], 1, v0
	s_lshl_b32 s2, s2, 1
	s_branch .LBB0_44
.LBB0_42:                               ;   in Loop: Header=BB0_44 Depth=1
	buffer_load_dword v4, off, s[40:43], 0 offset:608 ; 4-byte Folded Reload
	buffer_load_dword v5, off, s[40:43], 0 offset:612 ; 4-byte Folded Reload
	;; [unrolled: 1-line block ×16, first 2 shown]
.LBB0_43:                               ;   in Loop: Header=BB0_44 Depth=1
	s_waitcnt vmcnt(21)
	buffer_store_dword v36, off, s[40:43], 0 offset:528 ; 4-byte Folded Spill
	s_waitcnt vmcnt(21)
	buffer_store_dword v37, off, s[40:43], 0 offset:532 ; 4-byte Folded Spill
	s_waitcnt vmcnt(21)
	buffer_store_dword v38, off, s[40:43], 0 offset:536 ; 4-byte Folded Spill
	s_waitcnt vmcnt(21)
	buffer_store_dword v39, off, s[40:43], 0 offset:540 ; 4-byte Folded Spill
	buffer_store_dword v32, off, s[40:43], 0 offset:672 ; 4-byte Folded Spill
	s_nop 0
	buffer_store_dword v33, off, s[40:43], 0 offset:676 ; 4-byte Folded Spill
	buffer_store_dword v34, off, s[40:43], 0 offset:680 ; 4-byte Folded Spill
	buffer_store_dword v35, off, s[40:43], 0 offset:684 ; 4-byte Folded Spill
	buffer_store_dword v28, off, s[40:43], 0 offset:512 ; 4-byte Folded Spill
	s_nop 0
	buffer_store_dword v29, off, s[40:43], 0 offset:516 ; 4-byte Folded Spill
	buffer_store_dword v30, off, s[40:43], 0 offset:520 ; 4-byte Folded Spill
	buffer_store_dword v31, off, s[40:43], 0 offset:524 ; 4-byte Folded Spill
	;; [unrolled: 5-line block ×3, first 2 shown]
	s_waitcnt vmcnt(19)
	buffer_store_dword v16, off, s[40:43], 0 offset:656 ; 4-byte Folded Spill
	s_waitcnt vmcnt(19)
	buffer_store_dword v17, off, s[40:43], 0 offset:660 ; 4-byte Folded Spill
	;; [unrolled: 2-line block ×4, first 2 shown]
	buffer_store_dword v12, off, s[40:43], 0 offset:640 ; 4-byte Folded Spill
	s_nop 0
	buffer_store_dword v13, off, s[40:43], 0 offset:644 ; 4-byte Folded Spill
	buffer_store_dword v14, off, s[40:43], 0 offset:648 ; 4-byte Folded Spill
	buffer_store_dword v15, off, s[40:43], 0 offset:652 ; 4-byte Folded Spill
	buffer_store_dword v8, off, s[40:43], 0 offset:624 ; 4-byte Folded Spill
	s_nop 0
	buffer_store_dword v9, off, s[40:43], 0 offset:628 ; 4-byte Folded Spill
	buffer_store_dword v10, off, s[40:43], 0 offset:632 ; 4-byte Folded Spill
	buffer_store_dword v11, off, s[40:43], 0 offset:636 ; 4-byte Folded Spill
	;; [unrolled: 5-line block ×3, first 2 shown]
	buffer_load_dword v0, off, s[40:43], 0 offset:400 ; 4-byte Folded Reload
	buffer_load_dword v1, off, s[40:43], 0 offset:404 ; 4-byte Folded Reload
	;; [unrolled: 1-line block ×24, first 2 shown]
	s_add_i32 s3, s3, -1
	s_cmp_lg_u32 s3, 0
	s_waitcnt vmcnt(18)
	v_fma_f64 v[0:1], v[0:1], v[16:17], 0
	v_fma_f64 v[14:15], v[16:17], v[2:3], 0
	buffer_load_dword v2, off, s[40:43], 0 offset:96 ; 4-byte Folded Reload
	buffer_load_dword v3, off, s[40:43], 0 offset:100 ; 4-byte Folded Reload
	;; [unrolled: 1-line block ×4, first 2 shown]
	s_waitcnt vmcnt(6)
	v_fma_f64 v[0:1], v[32:33], v[18:19], v[0:1]
	s_waitcnt vmcnt(4)
	v_fma_f64 v[14:15], v[18:19], v[34:35], v[14:15]
	buffer_load_dword v32, off, s[40:43], 0 offset:208 ; 4-byte Folded Reload
	buffer_load_dword v33, off, s[40:43], 0 offset:212 ; 4-byte Folded Reload
	;; [unrolled: 1-line block ×4, first 2 shown]
	s_waitcnt vmcnt(6)
	v_fma_f64 v[0:1], v[2:3], v[20:21], v[0:1]
	s_waitcnt vmcnt(4)
	v_fma_f64 v[14:15], v[20:21], v[4:5], v[14:15]
	;; [unrolled: 2-line block ×4, first 2 shown]
	buffer_load_dword v32, off, s[40:43], 0 offset:336 ; 4-byte Folded Reload
	buffer_load_dword v33, off, s[40:43], 0 offset:340 ; 4-byte Folded Reload
	buffer_load_dword v34, off, s[40:43], 0 offset:344 ; 4-byte Folded Reload
	buffer_load_dword v35, off, s[40:43], 0 offset:348 ; 4-byte Folded Reload
	s_waitcnt vmcnt(2)
	v_fma_f64 v[0:1], v[32:33], v[24:25], v[0:1]
	s_waitcnt vmcnt(0)
	v_fma_f64 v[14:15], v[24:25], v[34:35], v[14:15]
	buffer_load_dword v32, off, s[40:43], 0 offset:384 ; 4-byte Folded Reload
	buffer_load_dword v33, off, s[40:43], 0 offset:388 ; 4-byte Folded Reload
	buffer_load_dword v34, off, s[40:43], 0 offset:392 ; 4-byte Folded Reload
	buffer_load_dword v35, off, s[40:43], 0 offset:396 ; 4-byte Folded Reload
	s_waitcnt vmcnt(2)
	v_fma_f64 v[0:1], v[32:33], v[26:27], v[0:1]
	s_waitcnt vmcnt(0)
	v_fma_f64 v[14:15], v[26:27], v[34:35], v[14:15]
	;; [unrolled: 8-line block ×3, first 2 shown]
	buffer_load_dword v32, off, s[40:43], 0 offset:192 ; 4-byte Folded Reload
	buffer_load_dword v33, off, s[40:43], 0 offset:196 ; 4-byte Folded Reload
	;; [unrolled: 1-line block ×4, first 2 shown]
	s_waitcnt vmcnt(2)
	v_fma_f64 v[32:33], v[32:33], v[30:31], v[0:1]
	buffer_load_dword v0, off, s[40:43], 0 offset:416 ; 4-byte Folded Reload
	buffer_load_dword v1, off, s[40:43], 0 offset:420 ; 4-byte Folded Reload
	;; [unrolled: 1-line block ×28, first 2 shown]
	s_waitcnt vmcnt(28)
	v_fma_f64 v[34:35], v[30:31], v[34:35], v[14:15]
	s_waitcnt vmcnt(26)
	v_fma_f64 v[0:1], v[16:17], v[0:1], 0
	;; [unrolled: 2-line block ×7, first 2 shown]
	buffer_load_dword v48, off, s[40:43], 0 offset:368 ; 4-byte Folded Reload
	buffer_load_dword v49, off, s[40:43], 0 offset:372 ; 4-byte Folded Reload
	;; [unrolled: 1-line block ×4, first 2 shown]
	s_waitcnt vmcnt(6)
	v_fma_f64 v[0:1], v[28:29], v[54:55], v[0:1]
	s_waitcnt vmcnt(2)
	v_fma_f64 v[36:37], v[30:31], v[48:49], v[0:1]
	v_fma_f64 v[0:1], v[16:17], v[2:3], 0
	;; [unrolled: 1-line block ×8, first 2 shown]
	s_waitcnt vmcnt(0)
	v_fma_f64 v[38:39], v[30:31], v[50:51], v[0:1]
	buffer_load_dword v0, off, s[40:43], 0 offset:480 ; 4-byte Folded Reload
	buffer_load_dword v1, off, s[40:43], 0 offset:484 ; 4-byte Folded Reload
	;; [unrolled: 1-line block ×16, first 2 shown]
	buffer_load_dword v4, off, s[40:43], 0  ; 4-byte Folded Reload
	buffer_load_dword v5, off, s[40:43], 0 offset:4 ; 4-byte Folded Reload
	buffer_load_dword v6, off, s[40:43], 0 offset:8 ; 4-byte Folded Reload
	;; [unrolled: 1-line block ×15, first 2 shown]
	s_waitcnt vmcnt(30)
	v_fma_f64 v[0:1], v[16:17], v[0:1], 0
	s_waitcnt vmcnt(26)
	v_fma_f64 v[0:1], v[18:19], v[8:9], v[0:1]
	;; [unrolled: 2-line block ×8, first 2 shown]
	v_fma_f64 v[0:1], v[16:17], v[2:3], 0
	v_fma_f64 v[0:1], v[18:19], v[10:11], v[0:1]
	;; [unrolled: 1-line block ×7, first 2 shown]
	s_waitcnt vmcnt(0)
	v_fma_f64 v[42:43], v[30:31], v[58:59], v[0:1]
	buffer_load_dword v0, off, s[40:43], 0 offset:464 ; 4-byte Folded Reload
	buffer_load_dword v1, off, s[40:43], 0 offset:468 ; 4-byte Folded Reload
	;; [unrolled: 1-line block ×32, first 2 shown]
	s_waitcnt vmcnt(30)
	v_fma_f64 v[0:1], v[16:17], v[0:1], 0
	s_waitcnt vmcnt(26)
	v_fma_f64 v[0:1], v[18:19], v[12:13], v[0:1]
	;; [unrolled: 2-line block ×8, first 2 shown]
	v_fma_f64 v[0:1], v[16:17], v[2:3], 0
	v_fma_f64 v[0:1], v[18:19], v[14:15], v[0:1]
	;; [unrolled: 1-line block ×7, first 2 shown]
	s_waitcnt vmcnt(0)
	v_fma_f64 v[46:47], v[30:31], v[50:51], v[0:1]
	s_set_gpr_idx_on s2, gpr_idx(SRC0)
	v_mov_b32_e32 v1, v33
	v_mov_b32_e32 v0, v32
	s_set_gpr_idx_off
	buffer_load_dword v2, off, s[40:43], 0 offset:1896 ; 4-byte Folded Reload
	buffer_load_dword v3, off, s[40:43], 0 offset:1900 ; 4-byte Folded Reload
	s_waitcnt vmcnt(0)
	v_add_f64 v[0:1], v[2:3], v[0:1]
	s_set_gpr_idx_on s2, gpr_idx(DST)
	v_mov_b32_e32 v32, v0
	v_mov_b32_e32 v33, v1
	s_set_gpr_idx_off
	buffer_load_dword v0, off, s[40:43], 0 offset:1024 ; 4-byte Folded Reload
	buffer_load_dword v1, off, s[40:43], 0 offset:1028 ; 4-byte Folded Reload
	s_waitcnt vmcnt(1)
	v_add_co_u32_e32 v0, vcc, 8, v0
	s_waitcnt vmcnt(0)
	v_addc_co_u32_e32 v1, vcc, 0, v1, vcc
	buffer_store_dword v0, off, s[40:43], 0 offset:1024 ; 4-byte Folded Spill
	s_nop 0
	buffer_store_dword v1, off, s[40:43], 0 offset:1028 ; 4-byte Folded Spill
	buffer_store_dword v32, off, s[40:43], 0 offset:1168 ; 4-byte Folded Spill
	s_nop 0
	buffer_store_dword v33, off, s[40:43], 0 offset:1172 ; 4-byte Folded Spill
	buffer_store_dword v34, off, s[40:43], 0 offset:1176 ; 4-byte Folded Spill
	;; [unrolled: 1-line block ×15, first 2 shown]
	buffer_load_dword v4, off, s[40:43], 0 offset:1032 ; 4-byte Folded Reload
	buffer_load_dword v5, off, s[40:43], 0 offset:1036 ; 4-byte Folded Reload
	s_waitcnt vmcnt(1)
	v_add_co_u32_e32 v4, vcc, 8, v4
	s_waitcnt vmcnt(0)
	v_addc_co_u32_e32 v5, vcc, 0, v5, vcc
	s_cbranch_scc0 .LBB0_53
.LBB0_44:                               ; =>This Inner Loop Header: Depth=1
	buffer_load_dword v6, off, s[40:43], 0 offset:592 ; 4-byte Folded Reload
	buffer_load_dword v7, off, s[40:43], 0 offset:596 ; 4-byte Folded Reload
	;; [unrolled: 1-line block ×16, first 2 shown]
	s_and_b64 vcc, exec, s[0:1]
	s_cbranch_vccnz .LBB0_46
; %bb.45:                               ;   in Loop: Header=BB0_44 Depth=1
	buffer_load_dword v0, off, s[40:43], 0 offset:1352 ; 4-byte Folded Reload
	buffer_load_dword v1, off, s[40:43], 0 offset:1356 ; 4-byte Folded Reload
	;; [unrolled: 1-line block ×20, first 2 shown]
	s_mov_b64 s[6:7], 0
	s_waitcnt vmcnt(16)
	v_fma_f64 v[0:1], v[14:15], v[0:1], 0
	s_waitcnt vmcnt(0)
	v_fma_f64 v[0:1], v[16:17], v[2:3], v[0:1]
	buffer_load_dword v2, off, s[40:43], 0 offset:1368 ; 4-byte Folded Reload
	buffer_load_dword v3, off, s[40:43], 0 offset:1372 ; 4-byte Folded Reload
	s_waitcnt vmcnt(0)
	v_fma_f64 v[0:1], v[18:19], v[2:3], v[0:1]
	buffer_load_dword v2, off, s[40:43], 0 offset:1360 ; 4-byte Folded Reload
	buffer_load_dword v3, off, s[40:43], 0 offset:1364 ; 4-byte Folded Reload
	;; [unrolled: 4-line block ×6, first 2 shown]
	s_waitcnt vmcnt(0)
	v_fma_f64 v[0:1], v[28:29], v[2:3], v[0:1]
	global_store_dwordx2 v[4:5], v[0:1], off
	s_branch .LBB0_47
.LBB0_46:                               ;   in Loop: Header=BB0_44 Depth=1
	s_mov_b64 s[6:7], -1
.LBB0_47:                               ;   in Loop: Header=BB0_44 Depth=1
	buffer_load_dword v0, off, s[40:43], 0 offset:448 ; 4-byte Folded Reload
	buffer_load_dword v1, off, s[40:43], 0 offset:452 ; 4-byte Folded Reload
	buffer_load_dword v2, off, s[40:43], 0 offset:456 ; 4-byte Folded Reload
	buffer_load_dword v3, off, s[40:43], 0 offset:460 ; 4-byte Folded Reload
	buffer_load_dword v10, off, s[40:43], 0 offset:48 ; 4-byte Folded Reload
	buffer_load_dword v11, off, s[40:43], 0 offset:52 ; 4-byte Folded Reload
	buffer_load_dword v12, off, s[40:43], 0 offset:56 ; 4-byte Folded Reload
	buffer_load_dword v13, off, s[40:43], 0 offset:60 ; 4-byte Folded Reload
	buffer_load_dword v40, off, s[40:43], 0 offset:576 ; 4-byte Folded Reload
	buffer_load_dword v41, off, s[40:43], 0 offset:580 ; 4-byte Folded Reload
	buffer_load_dword v42, off, s[40:43], 0 offset:584 ; 4-byte Folded Reload
	buffer_load_dword v43, off, s[40:43], 0 offset:588 ; 4-byte Folded Reload
	buffer_load_dword v28, off, s[40:43], 0 offset:512 ; 4-byte Folded Reload
	buffer_load_dword v29, off, s[40:43], 0 offset:516 ; 4-byte Folded Reload
	buffer_load_dword v30, off, s[40:43], 0 offset:520 ; 4-byte Folded Reload
	buffer_load_dword v31, off, s[40:43], 0 offset:524 ; 4-byte Folded Reload
	buffer_load_dword v32, off, s[40:43], 0 offset:672 ; 4-byte Folded Reload
	buffer_load_dword v33, off, s[40:43], 0 offset:676 ; 4-byte Folded Reload
	buffer_load_dword v34, off, s[40:43], 0 offset:680 ; 4-byte Folded Reload
	buffer_load_dword v35, off, s[40:43], 0 offset:684 ; 4-byte Folded Reload
	buffer_load_dword v36, off, s[40:43], 0 offset:528 ; 4-byte Folded Reload
	buffer_load_dword v37, off, s[40:43], 0 offset:532 ; 4-byte Folded Reload
	buffer_load_dword v38, off, s[40:43], 0 offset:536 ; 4-byte Folded Reload
	buffer_load_dword v39, off, s[40:43], 0 offset:540 ; 4-byte Folded Reload
	s_andn2_b64 vcc, exec, s[6:7]
	s_cbranch_vccnz .LBB0_49
; %bb.48:                               ;   in Loop: Header=BB0_44 Depth=1
	buffer_load_dword v44, off, s[40:43], 0 offset:1168 ; 4-byte Folded Reload
	buffer_load_dword v45, off, s[40:43], 0 offset:1172 ; 4-byte Folded Reload
	;; [unrolled: 1-line block ×24, first 2 shown]
	s_waitcnt vmcnt(22)
	global_store_dwordx2 v[4:5], v[44:45], off
	buffer_load_dword v52, off, s[40:43], 0 offset:560 ; 4-byte Folded Reload
	buffer_load_dword v53, off, s[40:43], 0 offset:564 ; 4-byte Folded Reload
	;; [unrolled: 1-line block ×4, first 2 shown]
.LBB0_49:                               ;   in Loop: Header=BB0_44 Depth=1
	s_andn2_b64 vcc, exec, s[4:5]
	buffer_store_dword v4, off, s[40:43], 0 offset:1032 ; 4-byte Folded Spill
	s_nop 0
	buffer_store_dword v5, off, s[40:43], 0 offset:1036 ; 4-byte Folded Spill
	s_cbranch_vccnz .LBB0_42
; %bb.50:                               ;   in Loop: Header=BB0_44 Depth=1
	s_waitcnt vmcnt(14)
	buffer_store_dword v46, off, s[40:43], 0 offset:544 ; 4-byte Folded Spill
	s_waitcnt vmcnt(14)
	buffer_store_dword v47, off, s[40:43], 0 offset:548 ; 4-byte Folded Spill
	;; [unrolled: 2-line block ×4, first 2 shown]
	buffer_load_dword v48, off, s[40:43], 0 offset:1008 ; 4-byte Folded Reload
	s_nop 0
	buffer_load_dword v49, off, s[40:43], 0 offset:1012 ; 4-byte Folded Reload
	buffer_load_dword v50, off, s[40:43], 0 offset:1016 ; 4-byte Folded Reload
	;; [unrolled: 1-line block ×3, first 2 shown]
	s_waitcnt vmcnt(13)
	buffer_store_dword v36, off, s[40:43], 0 offset:528 ; 4-byte Folded Spill
	s_waitcnt vmcnt(13)
	buffer_store_dword v37, off, s[40:43], 0 offset:532 ; 4-byte Folded Spill
	;; [unrolled: 2-line block ×4, first 2 shown]
	buffer_load_dword v10, off, s[40:43], 0 offset:976 ; 4-byte Folded Reload
	buffer_load_dword v11, off, s[40:43], 0 offset:980 ; 4-byte Folded Reload
	;; [unrolled: 1-line block ×4, first 2 shown]
	v_mov_b32_e32 v24, v60
	v_mov_b32_e32 v25, v61
	;; [unrolled: 1-line block ×5, first 2 shown]
	s_and_b64 vcc, exec, s[0:1]
	v_mov_b32_e32 v62, v42
	v_mov_b32_e32 v61, v41
	;; [unrolled: 1-line block ×3, first 2 shown]
	buffer_store_dword v6, off, s[40:43], 0 offset:592 ; 4-byte Folded Spill
	s_nop 0
	buffer_store_dword v7, off, s[40:43], 0 offset:596 ; 4-byte Folded Spill
	buffer_store_dword v8, off, s[40:43], 0 offset:600 ; 4-byte Folded Spill
	;; [unrolled: 1-line block ×4, first 2 shown]
	s_nop 0
	buffer_store_dword v29, off, s[40:43], 0 offset:516 ; 4-byte Folded Spill
	buffer_store_dword v30, off, s[40:43], 0 offset:520 ; 4-byte Folded Spill
	;; [unrolled: 1-line block ×3, first 2 shown]
	s_waitcnt vmcnt(18)
	v_mov_b32_e32 v0, v48
	v_mov_b32_e32 v1, v49
	s_cbranch_vccnz .LBB0_52
; %bb.51:                               ;   in Loop: Header=BB0_44 Depth=1
	buffer_load_dword v8, off, s[40:43], 0 offset:1352 ; 4-byte Folded Reload
	buffer_load_dword v9, off, s[40:43], 0 offset:1356 ; 4-byte Folded Reload
	;; [unrolled: 1-line block ×8, first 2 shown]
	s_nop 0
	buffer_store_dword v60, off, s[40:43], 0 offset:576 ; 4-byte Folded Spill
	s_nop 0
	buffer_store_dword v61, off, s[40:43], 0 offset:580 ; 4-byte Folded Spill
	buffer_store_dword v62, off, s[40:43], 0 offset:584 ; 4-byte Folded Spill
	;; [unrolled: 1-line block ×4, first 2 shown]
	s_nop 0
	buffer_store_dword v53, off, s[40:43], 0 offset:564 ; 4-byte Folded Spill
	buffer_store_dword v54, off, s[40:43], 0 offset:568 ; 4-byte Folded Spill
	;; [unrolled: 1-line block ×3, first 2 shown]
	buffer_load_dword v58, off, s[40:43], 0 offset:544 ; 4-byte Folded Reload
	buffer_load_dword v59, off, s[40:43], 0 offset:548 ; 4-byte Folded Reload
	;; [unrolled: 1-line block ×14, first 2 shown]
	s_waitcnt vmcnt(26)
	v_mul_f64 v[14:15], v[40:41], v[8:9]
	buffer_load_dword v38, off, s[40:43], 0 offset:656 ; 4-byte Folded Reload
	buffer_load_dword v39, off, s[40:43], 0 offset:660 ; 4-byte Folded Reload
	;; [unrolled: 1-line block ×4, first 2 shown]
	v_mul_f64 v[0:1], v[48:49], v[8:9]
	buffer_load_dword v4, off, s[40:43], 0 offset:1376 ; 4-byte Folded Reload
	buffer_load_dword v5, off, s[40:43], 0 offset:1380 ; 4-byte Folded Reload
	v_fma_f64 v[0:1], v[0:1], v[8:9], 0
	s_waitcnt vmcnt(28)
	v_fma_f64 v[0:1], v[14:15], v[2:3], v[0:1]
	s_waitcnt vmcnt(18)
	v_mul_f64 v[14:15], v[58:59], v[8:9]
	buffer_load_dword v56, off, s[40:43], 0 offset:608 ; 4-byte Folded Reload
	buffer_load_dword v57, off, s[40:43], 0 offset:612 ; 4-byte Folded Reload
	;; [unrolled: 1-line block ×6, first 2 shown]
	s_waitcnt vmcnt(20)
	v_fma_f64 v[0:1], v[14:15], v[18:19], v[0:1]
	v_mul_f64 v[14:15], v[32:33], v[8:9]
	s_waitcnt vmcnt(18)
	v_fma_f64 v[0:1], v[14:15], v[16:17], v[0:1]
	s_waitcnt vmcnt(16)
	v_mul_f64 v[14:15], v[44:45], v[8:9]
	s_waitcnt vmcnt(12)
	v_fma_f64 v[0:1], v[14:15], v[6:7], v[0:1]
	s_waitcnt vmcnt(10)
	v_mul_f64 v[14:15], v[38:39], v[8:9]
	buffer_load_dword v36, off, s[40:43], 0 offset:816 ; 4-byte Folded Reload
	buffer_load_dword v37, off, s[40:43], 0 offset:820 ; 4-byte Folded Reload
	;; [unrolled: 1-line block ×6, first 2 shown]
	s_waitcnt vmcnt(12)
	v_fma_f64 v[0:1], v[14:15], v[4:5], v[0:1]
	s_waitcnt vmcnt(10)
	v_mul_f64 v[14:15], v[56:57], v[8:9]
	s_waitcnt vmcnt(6)
	v_fma_f64 v[0:1], v[14:15], v[22:23], v[0:1]
	s_waitcnt vmcnt(4)
	v_mul_f64 v[14:15], v[36:37], v[8:9]
	s_waitcnt vmcnt(0)
	v_fma_f64 v[0:1], v[14:15], v[20:21], v[0:1]
	v_mul_f64 v[14:15], v[50:51], v[2:3]
	v_fma_f64 v[0:1], v[14:15], v[8:9], v[0:1]
	v_mul_f64 v[14:15], v[42:43], v[2:3]
	;; [unrolled: 2-line block ×7, first 2 shown]
	buffer_load_dword v58, off, s[40:43], 0 offset:688 ; 4-byte Folded Reload
	buffer_load_dword v59, off, s[40:43], 0 offset:692 ; 4-byte Folded Reload
	;; [unrolled: 1-line block ×8, first 2 shown]
	v_fma_f64 v[0:1], v[14:15], v[22:23], v[0:1]
	v_mul_f64 v[14:15], v[38:39], v[2:3]
	v_fma_f64 v[0:1], v[14:15], v[20:21], v[0:1]
	s_waitcnt vmcnt(6)
	v_mul_f64 v[14:15], v[58:59], v[18:19]
	v_fma_f64 v[0:1], v[14:15], v[8:9], v[0:1]
	s_waitcnt vmcnt(2)
	v_mul_f64 v[14:15], v[44:45], v[18:19]
	buffer_load_dword v42, off, s[40:43], 0 offset:752 ; 4-byte Folded Reload
	buffer_load_dword v43, off, s[40:43], 0 offset:756 ; 4-byte Folded Reload
	;; [unrolled: 1-line block ×4, first 2 shown]
	v_fma_f64 v[0:1], v[14:15], v[2:3], v[0:1]
	v_mul_f64 v[14:15], v[24:25], v[18:19]
	v_fma_f64 v[0:1], v[14:15], v[18:19], v[0:1]
	s_waitcnt vmcnt(2)
	v_mul_f64 v[14:15], v[42:43], v[18:19]
	buffer_load_dword v40, off, s[40:43], 0 offset:880 ; 4-byte Folded Reload
	buffer_load_dword v41, off, s[40:43], 0 offset:884 ; 4-byte Folded Reload
	;; [unrolled: 1-line block ×4, first 2 shown]
	v_fma_f64 v[0:1], v[14:15], v[16:17], v[0:1]
	s_waitcnt vmcnt(2)
	v_mul_f64 v[14:15], v[40:41], v[18:19]
	buffer_load_dword v38, off, s[40:43], 0 offset:640 ; 4-byte Folded Reload
	buffer_load_dword v39, off, s[40:43], 0 offset:644 ; 4-byte Folded Reload
	;; [unrolled: 1-line block ×8, first 2 shown]
	v_fma_f64 v[0:1], v[14:15], v[6:7], v[0:1]
	s_waitcnt vmcnt(6)
	v_mul_f64 v[14:15], v[38:39], v[18:19]
	buffer_load_dword v36, off, s[40:43], 0 offset:800 ; 4-byte Folded Reload
	buffer_load_dword v37, off, s[40:43], 0 offset:804 ; 4-byte Folded Reload
	;; [unrolled: 1-line block ×4, first 2 shown]
	v_fma_f64 v[0:1], v[14:15], v[4:5], v[0:1]
	s_waitcnt vmcnt(6)
	v_mul_f64 v[14:15], v[56:57], v[18:19]
	v_fma_f64 v[0:1], v[14:15], v[22:23], v[0:1]
	s_waitcnt vmcnt(2)
	v_mul_f64 v[14:15], v[36:37], v[18:19]
	v_fma_f64 v[0:1], v[14:15], v[20:21], v[0:1]
	v_mul_f64 v[14:15], v[60:61], v[16:17]
	v_mov_b32_e32 v63, v35
	v_mov_b32_e32 v62, v34
	;; [unrolled: 1-line block ×4, first 2 shown]
	v_fma_f64 v[0:1], v[14:15], v[8:9], v[0:1]
	v_mul_f64 v[14:15], v[46:47], v[16:17]
	v_fma_f64 v[0:1], v[14:15], v[2:3], v[0:1]
	v_mul_f64 v[14:15], v[26:27], v[16:17]
	v_fma_f64 v[0:1], v[14:15], v[18:19], v[0:1]
	v_mul_f64 v[14:15], v[44:45], v[16:17]
	v_fma_f64 v[0:1], v[14:15], v[16:17], v[0:1]
	v_mul_f64 v[14:15], v[42:43], v[16:17]
	buffer_load_dword v42, off, s[40:43], 0 offset:912 ; 4-byte Folded Reload
	buffer_load_dword v43, off, s[40:43], 0 offset:916 ; 4-byte Folded Reload
	;; [unrolled: 1-line block ×8, first 2 shown]
	v_fma_f64 v[0:1], v[14:15], v[6:7], v[0:1]
	v_mul_f64 v[14:15], v[40:41], v[16:17]
	v_fma_f64 v[0:1], v[14:15], v[4:5], v[0:1]
	v_mul_f64 v[14:15], v[58:59], v[16:17]
	v_fma_f64 v[0:1], v[14:15], v[22:23], v[0:1]
	s_waitcnt vmcnt(8)
	v_mul_f64 v[14:15], v[38:39], v[16:17]
	v_fma_f64 v[0:1], v[14:15], v[20:21], v[0:1]
	v_mul_f64 v[14:15], v[10:11], v[6:7]
	v_fma_f64 v[0:1], v[14:15], v[8:9], v[0:1]
	s_waitcnt vmcnt(6)
	v_mul_f64 v[14:15], v[42:43], v[6:7]
	v_fma_f64 v[0:1], v[14:15], v[2:3], v[0:1]
	s_waitcnt vmcnt(2)
	v_mul_f64 v[14:15], v[28:29], v[6:7]
	buffer_load_dword v28, off, s[40:43], 0 offset:704 ; 4-byte Folded Reload
	buffer_load_dword v29, off, s[40:43], 0 offset:708 ; 4-byte Folded Reload
	;; [unrolled: 1-line block ×8, first 2 shown]
	v_fma_f64 v[0:1], v[14:15], v[18:19], v[0:1]
	s_waitcnt vmcnt(6)
	v_mul_f64 v[14:15], v[28:29], v[6:7]
	v_fma_f64 v[0:1], v[14:15], v[16:17], v[0:1]
	s_waitcnt vmcnt(2)
	v_mul_f64 v[14:15], v[40:41], v[6:7]
	buffer_load_dword v38, off, s[40:43], 0 offset:624 ; 4-byte Folded Reload
	buffer_load_dword v39, off, s[40:43], 0 offset:628 ; 4-byte Folded Reload
	;; [unrolled: 1-line block ×8, first 2 shown]
	v_fma_f64 v[0:1], v[14:15], v[6:7], v[0:1]
	s_waitcnt vmcnt(6)
	v_mul_f64 v[14:15], v[38:39], v[6:7]
	buffer_load_dword v36, off, s[40:43], 0 offset:784 ; 4-byte Folded Reload
	buffer_load_dword v37, off, s[40:43], 0 offset:788 ; 4-byte Folded Reload
	;; [unrolled: 1-line block ×4, first 2 shown]
	v_fma_f64 v[0:1], v[14:15], v[4:5], v[0:1]
	s_waitcnt vmcnt(6)
	v_mul_f64 v[14:15], v[56:57], v[6:7]
	v_fma_f64 v[0:1], v[14:15], v[22:23], v[0:1]
	s_waitcnt vmcnt(2)
	v_mul_f64 v[14:15], v[36:37], v[6:7]
	v_fma_f64 v[0:1], v[14:15], v[20:21], v[0:1]
	v_mul_f64 v[14:15], v[12:13], v[4:5]
	v_fma_f64 v[0:1], v[14:15], v[8:9], v[0:1]
	v_mul_f64 v[14:15], v[44:45], v[4:5]
	buffer_load_dword v44, off, s[40:43], 0 offset:560 ; 4-byte Folded Reload
	buffer_load_dword v45, off, s[40:43], 0 offset:564 ; 4-byte Folded Reload
	;; [unrolled: 1-line block ×12, first 2 shown]
	v_fma_f64 v[0:1], v[14:15], v[2:3], v[0:1]
	s_waitcnt vmcnt(8)
	v_mul_f64 v[14:15], v[46:47], v[4:5]
	v_fma_f64 v[0:1], v[14:15], v[18:19], v[0:1]
	v_mul_f64 v[14:15], v[30:31], v[4:5]
	buffer_load_dword v28, off, s[40:43], 0 offset:528 ; 4-byte Folded Reload
	buffer_load_dword v29, off, s[40:43], 0 offset:532 ; 4-byte Folded Reload
	buffer_load_dword v30, off, s[40:43], 0 offset:536 ; 4-byte Folded Reload
	buffer_load_dword v31, off, s[40:43], 0 offset:540 ; 4-byte Folded Reload
	v_fma_f64 v[0:1], v[14:15], v[16:17], v[0:1]
	v_mul_f64 v[14:15], v[42:43], v[4:5]
	v_fma_f64 v[0:1], v[14:15], v[6:7], v[0:1]
	v_mul_f64 v[14:15], v[40:41], v[4:5]
	;; [unrolled: 2-line block ×4, first 2 shown]
	buffer_load_dword v36, off, s[40:43], 0 offset:512 ; 4-byte Folded Reload
	buffer_load_dword v37, off, s[40:43], 0 offset:516 ; 4-byte Folded Reload
	;; [unrolled: 1-line block ×4, first 2 shown]
	v_fma_f64 v[0:1], v[14:15], v[20:21], v[0:1]
	s_waitcnt vmcnt(10)
	v_mul_f64 v[14:15], v[52:53], v[22:23]
	v_fma_f64 v[0:1], v[14:15], v[8:9], v[0:1]
	v_mul_f64 v[14:15], v[32:33], v[22:23]
	v_fma_f64 v[0:1], v[14:15], v[2:3], v[0:1]
	s_waitcnt vmcnt(6)
	v_mul_f64 v[14:15], v[28:29], v[22:23]
	v_fma_f64 v[0:1], v[14:15], v[18:19], v[0:1]
	s_waitcnt vmcnt(2)
	v_mul_f64 v[14:15], v[36:37], v[22:23]
	buffer_load_dword v36, off, s[40:43], 0 offset:576 ; 4-byte Folded Reload
	buffer_load_dword v37, off, s[40:43], 0 offset:580 ; 4-byte Folded Reload
	;; [unrolled: 1-line block ×12, first 2 shown]
	v_fma_f64 v[0:1], v[14:15], v[16:17], v[0:1]
	s_waitcnt vmcnt(10)
	v_mul_f64 v[14:15], v[36:37], v[22:23]
	buffer_load_dword v36, off, s[40:43], 0 offset:992 ; 4-byte Folded Reload
	buffer_load_dword v37, off, s[40:43], 0 offset:996 ; 4-byte Folded Reload
	;; [unrolled: 1-line block ×4, first 2 shown]
	v_fma_f64 v[0:1], v[14:15], v[6:7], v[0:1]
	s_waitcnt vmcnt(10)
	v_mul_f64 v[14:15], v[40:41], v[22:23]
	v_fma_f64 v[0:1], v[14:15], v[4:5], v[0:1]
	s_waitcnt vmcnt(6)
	v_mul_f64 v[14:15], v[56:57], v[22:23]
	v_fma_f64 v[0:1], v[14:15], v[22:23], v[0:1]
	s_waitcnt vmcnt(2)
	v_mul_f64 v[14:15], v[36:37], v[22:23]
	v_mov_b32_e32 v37, v35
	v_mov_b32_e32 v36, v34
	;; [unrolled: 1-line block ×8, first 2 shown]
	buffer_load_dword v60, off, s[40:43], 0 offset:576 ; 4-byte Folded Reload
	buffer_load_dword v61, off, s[40:43], 0 offset:580 ; 4-byte Folded Reload
	;; [unrolled: 1-line block ×8, first 2 shown]
	v_fma_f64 v[0:1], v[14:15], v[20:21], v[0:1]
	v_mul_f64 v[14:15], v[54:55], v[20:21]
	v_fma_f64 v[0:1], v[14:15], v[8:9], v[0:1]
	v_mul_f64 v[14:15], v[36:37], v[20:21]
	;; [unrolled: 2-line block ×3, first 2 shown]
	buffer_load_dword v52, off, s[40:43], 0 offset:560 ; 4-byte Folded Reload
	buffer_load_dword v53, off, s[40:43], 0 offset:564 ; 4-byte Folded Reload
	;; [unrolled: 1-line block ×8, first 2 shown]
	v_fma_f64 v[0:1], v[14:15], v[18:19], v[0:1]
	s_waitcnt vmcnt(8)
	v_mul_f64 v[14:15], v[46:47], v[20:21]
	v_fma_f64 v[0:1], v[14:15], v[16:17], v[0:1]
	v_mul_f64 v[14:15], v[62:63], v[20:21]
	v_fma_f64 v[0:1], v[14:15], v[6:7], v[0:1]
	;; [unrolled: 2-line block ×5, first 2 shown]
.LBB0_52:                               ;   in Loop: Header=BB0_44 Depth=1
	buffer_store_dword v0, off, s[40:43], 0 offset:576 ; 4-byte Folded Spill
	s_nop 0
	buffer_store_dword v1, off, s[40:43], 0 offset:580 ; 4-byte Folded Spill
	buffer_load_dword v2, off, s[40:43], 0 offset:400 ; 4-byte Folded Reload
	buffer_load_dword v3, off, s[40:43], 0 offset:404 ; 4-byte Folded Reload
	;; [unrolled: 1-line block ×4, first 2 shown]
	v_mov_b32_e32 v43, v27
	v_mov_b32_e32 v42, v26
	;; [unrolled: 1-line block ×8, first 2 shown]
	s_waitcnt vmcnt(2)
	v_fma_f64 v[0:1], v[2:3], v[48:49], 0
	s_waitcnt vmcnt(0)
	v_mov_b32_e32 v7, v5
	v_mov_b32_e32 v6, v4
	;; [unrolled: 1-line block ×4, first 2 shown]
	buffer_load_dword v2, off, s[40:43], 0 offset:320 ; 4-byte Folded Reload
	buffer_load_dword v3, off, s[40:43], 0 offset:324 ; 4-byte Folded Reload
	;; [unrolled: 1-line block ×4, first 2 shown]
	s_waitcnt vmcnt(2)
	v_fma_f64 v[16:17], v[2:3], v[50:51], v[0:1]
	v_fma_f64 v[0:1], v[6:7], v[48:49], 0
	s_waitcnt vmcnt(0)
	v_fma_f64 v[18:19], v[4:5], v[50:51], v[0:1]
	buffer_load_dword v2, off, s[40:43], 0 offset:416 ; 4-byte Folded Reload
	buffer_load_dword v3, off, s[40:43], 0 offset:420 ; 4-byte Folded Reload
	;; [unrolled: 1-line block ×4, first 2 shown]
	s_waitcnt vmcnt(2)
	v_fma_f64 v[0:1], v[2:3], v[48:49], 0
	s_waitcnt vmcnt(0)
	v_mov_b32_e32 v7, v5
	v_mov_b32_e32 v6, v4
	;; [unrolled: 1-line block ×4, first 2 shown]
	buffer_load_dword v2, off, s[40:43], 0 offset:176 ; 4-byte Folded Reload
	buffer_load_dword v3, off, s[40:43], 0 offset:180 ; 4-byte Folded Reload
	buffer_load_dword v4, off, s[40:43], 0 offset:184 ; 4-byte Folded Reload
	buffer_load_dword v5, off, s[40:43], 0 offset:188 ; 4-byte Folded Reload
	s_waitcnt vmcnt(2)
	v_fma_f64 v[20:21], v[2:3], v[50:51], v[0:1]
	v_fma_f64 v[0:1], v[6:7], v[48:49], 0
	s_waitcnt vmcnt(0)
	v_fma_f64 v[22:23], v[4:5], v[50:51], v[0:1]
	buffer_load_dword v2, off, s[40:43], 0 offset:480 ; 4-byte Folded Reload
	buffer_load_dword v3, off, s[40:43], 0 offset:484 ; 4-byte Folded Reload
	;; [unrolled: 1-line block ×8, first 2 shown]
	s_waitcnt vmcnt(6)
	v_fma_f64 v[0:1], v[2:3], v[48:49], 0
	s_waitcnt vmcnt(2)
	v_fma_f64 v[24:25], v[6:7], v[50:51], v[0:1]
	v_fma_f64 v[0:1], v[4:5], v[48:49], 0
	buffer_load_dword v2, off, s[40:43], 0 offset:464 ; 4-byte Folded Reload
	buffer_load_dword v3, off, s[40:43], 0 offset:468 ; 4-byte Folded Reload
	;; [unrolled: 1-line block ×8, first 2 shown]
	s_waitcnt vmcnt(8)
	v_fma_f64 v[0:1], v[8:9], v[50:51], v[0:1]
	s_waitcnt vmcnt(6)
	v_fma_f64 v[14:15], v[2:3], v[48:49], 0
	s_waitcnt vmcnt(4)
	v_mov_b32_e32 v7, v5
	v_mov_b32_e32 v6, v4
	;; [unrolled: 1-line block ×4, first 2 shown]
	buffer_load_dword v56, off, s[40:43], 0 offset:896 ; 4-byte Folded Reload
	buffer_load_dword v57, off, s[40:43], 0 offset:900 ; 4-byte Folded Reload
	;; [unrolled: 1-line block ×8, first 2 shown]
	v_fma_f64 v[26:27], v[6:7], v[48:49], 0
	s_waitcnt vmcnt(2)
	v_fma_f64 v[14:15], v[2:3], v[50:51], v[14:15]
	s_waitcnt vmcnt(0)
	v_fma_f64 v[26:27], v[4:5], v[50:51], v[26:27]
	buffer_load_dword v2, off, s[40:43], 0 offset:96 ; 4-byte Folded Reload
	buffer_load_dword v3, off, s[40:43], 0 offset:100 ; 4-byte Folded Reload
	;; [unrolled: 1-line block ×8, first 2 shown]
	s_waitcnt vmcnt(2)
	v_fma_f64 v[16:17], v[2:3], v[28:29], v[16:17]
	v_fma_f64 v[18:19], v[4:5], v[28:29], v[18:19]
	buffer_load_dword v2, off, s[40:43], 0 offset:80 ; 4-byte Folded Reload
	buffer_load_dword v3, off, s[40:43], 0 offset:84 ; 4-byte Folded Reload
	;; [unrolled: 1-line block ×4, first 2 shown]
	s_waitcnt vmcnt(2)
	v_fma_f64 v[20:21], v[2:3], v[28:29], v[20:21]
	s_waitcnt vmcnt(0)
	v_fma_f64 v[22:23], v[4:5], v[28:29], v[22:23]
	v_mov_b32_e32 v2, v28
	v_mov_b32_e32 v3, v29
	;; [unrolled: 1-line block ×4, first 2 shown]
	buffer_load_dword v28, off, s[40:43], 0 offset:496 ; 4-byte Folded Reload
	buffer_load_dword v29, off, s[40:43], 0 offset:500 ; 4-byte Folded Reload
	;; [unrolled: 1-line block ×8, first 2 shown]
	s_waitcnt vmcnt(6)
	v_fma_f64 v[24:25], v[28:29], v[2:3], v[24:25]
	s_waitcnt vmcnt(2)
	v_fma_f64 v[14:15], v[6:7], v[2:3], v[14:15]
	v_fma_f64 v[0:1], v[30:31], v[2:3], v[0:1]
	s_waitcnt vmcnt(0)
	v_fma_f64 v[26:27], v[8:9], v[2:3], v[26:27]
	buffer_load_dword v6, off, s[40:43], 0 offset:208 ; 4-byte Folded Reload
	buffer_load_dword v7, off, s[40:43], 0 offset:212 ; 4-byte Folded Reload
	buffer_load_dword v8, off, s[40:43], 0 offset:216 ; 4-byte Folded Reload
	buffer_load_dword v9, off, s[40:43], 0 offset:220 ; 4-byte Folded Reload
	s_waitcnt vmcnt(2)
	v_fma_f64 v[16:17], v[6:7], v[4:5], v[16:17]
	s_waitcnt vmcnt(0)
	v_fma_f64 v[18:19], v[8:9], v[4:5], v[18:19]
	buffer_load_dword v6, off, s[40:43], 0 offset:128 ; 4-byte Folded Reload
	buffer_load_dword v7, off, s[40:43], 0 offset:132 ; 4-byte Folded Reload
	buffer_load_dword v8, off, s[40:43], 0 offset:136 ; 4-byte Folded Reload
	buffer_load_dword v9, off, s[40:43], 0 offset:140 ; 4-byte Folded Reload
	s_waitcnt vmcnt(2)
	;; [unrolled: 8-line block ×3, first 2 shown]
	v_fma_f64 v[24:25], v[6:7], v[4:5], v[24:25]
	s_waitcnt vmcnt(0)
	v_fma_f64 v[0:1], v[8:9], v[4:5], v[0:1]
	buffer_load_dword v48, off, s[40:43], 0 offset:544 ; 4-byte Folded Reload
	buffer_load_dword v49, off, s[40:43], 0 offset:548 ; 4-byte Folded Reload
	;; [unrolled: 1-line block ×8, first 2 shown]
	s_waitcnt vmcnt(2)
	v_fma_f64 v[14:15], v[6:7], v[4:5], v[14:15]
	s_waitcnt vmcnt(0)
	v_fma_f64 v[26:27], v[8:9], v[4:5], v[26:27]
	buffer_load_dword v2, off, s[40:43], 0 offset:336 ; 4-byte Folded Reload
	buffer_load_dword v3, off, s[40:43], 0 offset:340 ; 4-byte Folded Reload
	;; [unrolled: 1-line block ×4, first 2 shown]
	s_waitcnt vmcnt(2)
	v_fma_f64 v[16:17], v[2:3], v[10:11], v[16:17]
	s_waitcnt vmcnt(0)
	v_fma_f64 v[18:19], v[4:5], v[10:11], v[18:19]
	buffer_load_dword v2, off, s[40:43], 0 offset:144 ; 4-byte Folded Reload
	buffer_load_dword v3, off, s[40:43], 0 offset:148 ; 4-byte Folded Reload
	;; [unrolled: 1-line block ×4, first 2 shown]
	s_waitcnt vmcnt(2)
	v_fma_f64 v[20:21], v[2:3], v[10:11], v[20:21]
	s_waitcnt vmcnt(0)
	v_fma_f64 v[22:23], v[4:5], v[10:11], v[22:23]
	buffer_load_dword v2, off, s[40:43], 0  ; 4-byte Folded Reload
	buffer_load_dword v3, off, s[40:43], 0 offset:4 ; 4-byte Folded Reload
	buffer_load_dword v4, off, s[40:43], 0 offset:8 ; 4-byte Folded Reload
	buffer_load_dword v5, off, s[40:43], 0 offset:12 ; 4-byte Folded Reload
	s_waitcnt vmcnt(2)
	v_fma_f64 v[24:25], v[2:3], v[10:11], v[24:25]
	s_waitcnt vmcnt(0)
	v_fma_f64 v[0:1], v[4:5], v[10:11], v[0:1]
	buffer_load_dword v2, off, s[40:43], 0 offset:32 ; 4-byte Folded Reload
	buffer_load_dword v3, off, s[40:43], 0 offset:36 ; 4-byte Folded Reload
	buffer_load_dword v4, off, s[40:43], 0 offset:40 ; 4-byte Folded Reload
	buffer_load_dword v5, off, s[40:43], 0 offset:44 ; 4-byte Folded Reload
	s_waitcnt vmcnt(2)
	v_fma_f64 v[14:15], v[2:3], v[10:11], v[14:15]
	s_waitcnt vmcnt(0)
	v_fma_f64 v[26:27], v[4:5], v[10:11], v[26:27]
	buffer_load_dword v2, off, s[40:43], 0 offset:384 ; 4-byte Folded Reload
	;; [unrolled: 8-line block ×6, first 2 shown]
	buffer_load_dword v7, off, s[40:43], 0 offset:356 ; 4-byte Folded Reload
	buffer_load_dword v8, off, s[40:43], 0 offset:360 ; 4-byte Folded Reload
	;; [unrolled: 1-line block ×11, first 2 shown]
	s_waitcnt vmcnt(6)
	v_fma_f64 v[16:17], v[6:7], v[2:3], v[16:17]
	v_fma_f64 v[18:19], v[8:9], v[2:3], v[18:19]
	buffer_load_dword v6, off, s[40:43], 0 offset:16 ; 4-byte Folded Reload
	buffer_load_dword v7, off, s[40:43], 0 offset:20 ; 4-byte Folded Reload
	;; [unrolled: 1-line block ×4, first 2 shown]
	s_waitcnt vmcnt(6)
	v_fma_f64 v[20:21], v[32:33], v[2:3], v[20:21]
	s_waitcnt vmcnt(4)
	v_fma_f64 v[22:23], v[34:35], v[2:3], v[22:23]
	;; [unrolled: 2-line block ×4, first 2 shown]
	buffer_load_dword v6, off, s[40:43], 0 offset:160 ; 4-byte Folded Reload
	buffer_load_dword v7, off, s[40:43], 0 offset:164 ; 4-byte Folded Reload
	;; [unrolled: 1-line block ×4, first 2 shown]
	s_waitcnt vmcnt(2)
	v_fma_f64 v[14:15], v[6:7], v[2:3], v[14:15]
	s_waitcnt vmcnt(0)
	v_fma_f64 v[26:27], v[8:9], v[2:3], v[26:27]
	buffer_load_dword v6, off, s[40:43], 0 offset:192 ; 4-byte Folded Reload
	buffer_load_dword v7, off, s[40:43], 0 offset:196 ; 4-byte Folded Reload
	buffer_load_dword v8, off, s[40:43], 0 offset:200 ; 4-byte Folded Reload
	buffer_load_dword v9, off, s[40:43], 0 offset:204 ; 4-byte Folded Reload
	s_waitcnt vmcnt(2)
	v_fma_f64 v[2:3], v[6:7], v[4:5], v[16:17]
	buffer_store_dword v2, off, s[40:43], 0 offset:1128 ; 4-byte Folded Spill
	s_nop 0
	buffer_store_dword v3, off, s[40:43], 0 offset:1132 ; 4-byte Folded Spill
	s_waitcnt vmcnt(2)
	v_fma_f64 v[2:3], v[8:9], v[4:5], v[18:19]
	buffer_store_dword v2, off, s[40:43], 0 offset:1080 ; 4-byte Folded Spill
	s_nop 0
	buffer_store_dword v3, off, s[40:43], 0 offset:1084 ; 4-byte Folded Spill
	buffer_load_dword v6, off, s[40:43], 0 offset:368 ; 4-byte Folded Reload
	buffer_load_dword v7, off, s[40:43], 0 offset:372 ; 4-byte Folded Reload
	buffer_load_dword v8, off, s[40:43], 0 offset:376 ; 4-byte Folded Reload
	buffer_load_dword v9, off, s[40:43], 0 offset:380 ; 4-byte Folded Reload
	s_waitcnt vmcnt(2)
	v_fma_f64 v[2:3], v[6:7], v[4:5], v[20:21]
	buffer_store_dword v2, off, s[40:43], 0 offset:1232 ; 4-byte Folded Spill
	s_nop 0
	buffer_store_dword v3, off, s[40:43], 0 offset:1236 ; 4-byte Folded Spill
	s_waitcnt vmcnt(2)
	v_fma_f64 v[2:3], v[8:9], v[4:5], v[22:23]
	buffer_store_dword v2, off, s[40:43], 0 offset:1040 ; 4-byte Folded Spill
	s_nop 0
	buffer_store_dword v3, off, s[40:43], 0 offset:1044 ; 4-byte Folded Spill
	;; [unrolled: 14-line block ×3, first 2 shown]
	buffer_load_dword v0, off, s[40:43], 0 offset:256 ; 4-byte Folded Reload
	s_nop 0
	buffer_load_dword v1, off, s[40:43], 0 offset:260 ; 4-byte Folded Reload
	buffer_load_dword v2, off, s[40:43], 0 offset:264 ; 4-byte Folded Reload
	;; [unrolled: 1-line block ×3, first 2 shown]
	s_waitcnt vmcnt(2)
	v_fma_f64 v[0:1], v[0:1], v[4:5], v[14:15]
	buffer_store_dword v0, off, s[40:43], 0 offset:688 ; 4-byte Folded Spill
	s_nop 0
	buffer_store_dword v1, off, s[40:43], 0 offset:692 ; 4-byte Folded Spill
	s_waitcnt vmcnt(2)
	v_fma_f64 v[0:1], v[2:3], v[4:5], v[26:27]
	buffer_store_dword v0, off, s[40:43], 0 offset:560 ; 4-byte Folded Spill
	s_nop 0
	buffer_store_dword v1, off, s[40:43], 0 offset:564 ; 4-byte Folded Spill
	buffer_load_dword v2, off, s[40:43], 0 offset:944 ; 4-byte Folded Reload
	buffer_load_dword v3, off, s[40:43], 0 offset:948 ; 4-byte Folded Reload
	;; [unrolled: 1-line block ×16, first 2 shown]
	s_waitcnt vmcnt(10)
	v_fma_f64 v[0:1], v[6:7], v[2:3], 0
	s_waitcnt vmcnt(6)
	v_fma_f64 v[0:1], v[12:13], v[4:5], v[0:1]
	v_fma_f64 v[12:13], v[8:9], v[2:3], 0
	buffer_load_dword v6, off, s[40:43], 0 offset:416 ; 4-byte Folded Reload
	buffer_load_dword v7, off, s[40:43], 0 offset:420 ; 4-byte Folded Reload
	buffer_load_dword v8, off, s[40:43], 0 offset:424 ; 4-byte Folded Reload
	buffer_load_dword v9, off, s[40:43], 0 offset:428 ; 4-byte Folded Reload
	buffer_load_dword v16, off, s[40:43], 0 offset:176 ; 4-byte Folded Reload
	buffer_load_dword v17, off, s[40:43], 0 offset:180 ; 4-byte Folded Reload
	buffer_load_dword v18, off, s[40:43], 0 offset:184 ; 4-byte Folded Reload
	buffer_load_dword v19, off, s[40:43], 0 offset:188 ; 4-byte Folded Reload
	s_waitcnt vmcnt(12)
	v_fma_f64 v[12:13], v[14:15], v[4:5], v[12:13]
	s_waitcnt vmcnt(6)
	v_fma_f64 v[14:15], v[6:7], v[2:3], 0
	s_waitcnt vmcnt(2)
	v_fma_f64 v[14:15], v[16:17], v[4:5], v[14:15]
	v_fma_f64 v[16:17], v[8:9], v[2:3], 0
	buffer_load_dword v6, off, s[40:43], 0 offset:480 ; 4-byte Folded Reload
	buffer_load_dword v7, off, s[40:43], 0 offset:484 ; 4-byte Folded Reload
	buffer_load_dword v8, off, s[40:43], 0 offset:488 ; 4-byte Folded Reload
	buffer_load_dword v9, off, s[40:43], 0 offset:492 ; 4-byte Folded Reload
	buffer_load_dword v20, off, s[40:43], 0 offset:240 ; 4-byte Folded Reload
	buffer_load_dword v21, off, s[40:43], 0 offset:244 ; 4-byte Folded Reload
	buffer_load_dword v22, off, s[40:43], 0 offset:248 ; 4-byte Folded Reload
	buffer_load_dword v23, off, s[40:43], 0 offset:252 ; 4-byte Folded Reload
	s_waitcnt vmcnt(8)
	v_fma_f64 v[16:17], v[18:19], v[4:5], v[16:17]
	;; [unrolled: 15-line block ×3, first 2 shown]
	s_waitcnt vmcnt(6)
	v_fma_f64 v[22:23], v[6:7], v[2:3], 0
	s_waitcnt vmcnt(4)
	v_fma_f64 v[6:7], v[8:9], v[2:3], 0
	;; [unrolled: 2-line block ×4, first 2 shown]
	buffer_load_dword v28, off, s[40:43], 0 offset:928 ; 4-byte Folded Reload
	buffer_load_dword v29, off, s[40:43], 0 offset:932 ; 4-byte Folded Reload
	;; [unrolled: 1-line block ×12, first 2 shown]
	s_waitcnt vmcnt(6)
	v_fma_f64 v[0:1], v[2:3], v[28:29], v[0:1]
	s_waitcnt vmcnt(4)
	v_fma_f64 v[4:5], v[4:5], v[28:29], v[12:13]
	;; [unrolled: 2-line block ×4, first 2 shown]
	buffer_load_dword v8, off, s[40:43], 0 offset:496 ; 4-byte Folded Reload
	buffer_load_dword v9, off, s[40:43], 0 offset:500 ; 4-byte Folded Reload
	buffer_load_dword v10, off, s[40:43], 0 offset:504 ; 4-byte Folded Reload
	buffer_load_dword v11, off, s[40:43], 0 offset:508 ; 4-byte Folded Reload
	s_waitcnt vmcnt(2)
	v_fma_f64 v[16:17], v[8:9], v[28:29], v[18:19]
	s_waitcnt vmcnt(0)
	v_fma_f64 v[18:19], v[10:11], v[28:29], v[20:21]
	buffer_load_dword v8, off, s[40:43], 0 offset:432 ; 4-byte Folded Reload
	buffer_load_dword v9, off, s[40:43], 0 offset:436 ; 4-byte Folded Reload
	buffer_load_dword v10, off, s[40:43], 0 offset:440 ; 4-byte Folded Reload
	buffer_load_dword v11, off, s[40:43], 0 offset:444 ; 4-byte Folded Reload
	s_waitcnt vmcnt(2)
	v_fma_f64 v[20:21], v[8:9], v[28:29], v[22:23]
	s_waitcnt vmcnt(0)
	v_fma_f64 v[2:3], v[10:11], v[28:29], v[6:7]
	;; [unrolled: 8-line block ×6, first 2 shown]
	buffer_load_dword v0, off, s[40:43], 0 offset:912 ; 4-byte Folded Reload
	buffer_load_dword v1, off, s[40:43], 0 offset:916 ; 4-byte Folded Reload
	;; [unrolled: 1-line block ×8, first 2 shown]
	s_waitcnt vmcnt(2)
	v_fma_f64 v[28:29], v[8:9], v[0:1], v[28:29]
	s_waitcnt vmcnt(0)
	v_fma_f64 v[4:5], v[10:11], v[0:1], v[6:7]
	buffer_load_dword v6, off, s[40:43], 0 offset:144 ; 4-byte Folded Reload
	buffer_load_dword v7, off, s[40:43], 0 offset:148 ; 4-byte Folded Reload
	;; [unrolled: 1-line block ×4, first 2 shown]
	s_waitcnt vmcnt(2)
	v_fma_f64 v[6:7], v[6:7], v[0:1], v[22:23]
	s_waitcnt vmcnt(0)
	v_fma_f64 v[20:21], v[8:9], v[0:1], v[12:13]
	buffer_load_dword v8, off, s[40:43], 0  ; 4-byte Folded Reload
	buffer_load_dword v9, off, s[40:43], 0 offset:4 ; 4-byte Folded Reload
	buffer_load_dword v10, off, s[40:43], 0 offset:8 ; 4-byte Folded Reload
	buffer_load_dword v11, off, s[40:43], 0 offset:12 ; 4-byte Folded Reload
	s_waitcnt vmcnt(2)
	v_fma_f64 v[12:13], v[8:9], v[0:1], v[14:15]
	s_waitcnt vmcnt(0)
	v_fma_f64 v[14:15], v[10:11], v[0:1], v[16:17]
	buffer_load_dword v8, off, s[40:43], 0 offset:32 ; 4-byte Folded Reload
	buffer_load_dword v9, off, s[40:43], 0 offset:36 ; 4-byte Folded Reload
	buffer_load_dword v10, off, s[40:43], 0 offset:40 ; 4-byte Folded Reload
	buffer_load_dword v11, off, s[40:43], 0 offset:44 ; 4-byte Folded Reload
	s_waitcnt vmcnt(2)
	v_fma_f64 v[16:17], v[8:9], v[0:1], v[18:19]
	s_waitcnt vmcnt(0)
	v_fma_f64 v[0:1], v[10:11], v[0:1], v[30:31]
	buffer_load_dword v8, off, s[40:43], 0 offset:384 ; 4-byte Folded Reload
	;; [unrolled: 8-line block ×4, first 2 shown]
	buffer_load_dword v9, off, s[40:43], 0 offset:452 ; 4-byte Folded Reload
	buffer_load_dword v10, off, s[40:43], 0 offset:456 ; 4-byte Folded Reload
	;; [unrolled: 1-line block ×3, first 2 shown]
	v_fma_f64 v[6:7], v[32:33], v[56:57], v[6:7]
	v_fma_f64 v[18:19], v[34:35], v[56:57], v[18:19]
	s_waitcnt vmcnt(2)
	v_fma_f64 v[12:13], v[8:9], v[2:3], v[12:13]
	s_waitcnt vmcnt(0)
	v_fma_f64 v[14:15], v[10:11], v[2:3], v[14:15]
	buffer_load_dword v8, off, s[40:43], 0 offset:288 ; 4-byte Folded Reload
	buffer_load_dword v9, off, s[40:43], 0 offset:292 ; 4-byte Folded Reload
	buffer_load_dword v10, off, s[40:43], 0 offset:296 ; 4-byte Folded Reload
	buffer_load_dword v11, off, s[40:43], 0 offset:300 ; 4-byte Folded Reload
	s_waitcnt vmcnt(2)
	v_fma_f64 v[16:17], v[8:9], v[2:3], v[16:17]
	s_waitcnt vmcnt(0)
	v_fma_f64 v[2:3], v[10:11], v[2:3], v[0:1]
	buffer_load_dword v8, off, s[40:43], 0 offset:352 ; 4-byte Folded Reload
	buffer_load_dword v9, off, s[40:43], 0 offset:356 ; 4-byte Folded Reload
	buffer_load_dword v10, off, s[40:43], 0 offset:360 ; 4-byte Folded Reload
	buffer_load_dword v11, off, s[40:43], 0 offset:364 ; 4-byte Folded Reload
	;; [unrolled: 8-line block ×5, first 2 shown]
	s_waitcnt vmcnt(2)
	v_fma_f64 v[0:1], v[8:9], v[58:59], v[0:1]
	buffer_store_dword v0, off, s[40:43], 0 offset:1144 ; 4-byte Folded Spill
	s_nop 0
	buffer_store_dword v1, off, s[40:43], 0 offset:1148 ; 4-byte Folded Spill
	s_waitcnt vmcnt(2)
	v_fma_f64 v[0:1], v[10:11], v[58:59], v[4:5]
	buffer_store_dword v0, off, s[40:43], 0 offset:1088 ; 4-byte Folded Spill
	s_nop 0
	buffer_store_dword v1, off, s[40:43], 0 offset:1092 ; 4-byte Folded Spill
	buffer_load_dword v8, off, s[40:43], 0 offset:368 ; 4-byte Folded Reload
	buffer_load_dword v9, off, s[40:43], 0 offset:372 ; 4-byte Folded Reload
	buffer_load_dword v10, off, s[40:43], 0 offset:376 ; 4-byte Folded Reload
	buffer_load_dword v11, off, s[40:43], 0 offset:380 ; 4-byte Folded Reload
	s_waitcnt vmcnt(2)
	v_fma_f64 v[0:1], v[8:9], v[58:59], v[6:7]
	buffer_store_dword v0, off, s[40:43], 0 offset:1240 ; 4-byte Folded Spill
	s_nop 0
	buffer_store_dword v1, off, s[40:43], 0 offset:1244 ; 4-byte Folded Spill
	s_waitcnt vmcnt(2)
	v_fma_f64 v[0:1], v[10:11], v[58:59], v[18:19]
	buffer_store_dword v0, off, s[40:43], 0 offset:1048 ; 4-byte Folded Spill
	s_nop 0
	buffer_store_dword v1, off, s[40:43], 0 offset:1052 ; 4-byte Folded Spill
	buffer_load_dword v4, off, s[40:43], 0 offset:304 ; 4-byte Folded Reload
	buffer_load_dword v5, off, s[40:43], 0 offset:308 ; 4-byte Folded Reload
	buffer_load_dword v6, off, s[40:43], 0 offset:312 ; 4-byte Folded Reload
	buffer_load_dword v7, off, s[40:43], 0 offset:316 ; 4-byte Folded Reload
	;; [unrolled: 14-line block ×4, first 2 shown]
	buffer_load_dword v28, off, s[40:43], 0 offset:320 ; 4-byte Folded Reload
	buffer_load_dword v29, off, s[40:43], 0 offset:324 ; 4-byte Folded Reload
	buffer_load_dword v30, off, s[40:43], 0 offset:328 ; 4-byte Folded Reload
	buffer_load_dword v31, off, s[40:43], 0 offset:332 ; 4-byte Folded Reload
	buffer_load_dword v4, off, s[40:43], 0 offset:416 ; 4-byte Folded Reload
	buffer_load_dword v5, off, s[40:43], 0 offset:420 ; 4-byte Folded Reload
	buffer_load_dword v6, off, s[40:43], 0 offset:424 ; 4-byte Folded Reload
	buffer_load_dword v7, off, s[40:43], 0 offset:428 ; 4-byte Folded Reload
	buffer_load_dword v12, off, s[40:43], 0 offset:176 ; 4-byte Folded Reload
	buffer_load_dword v13, off, s[40:43], 0 offset:180 ; 4-byte Folded Reload
	buffer_load_dword v14, off, s[40:43], 0 offset:184 ; 4-byte Folded Reload
	buffer_load_dword v15, off, s[40:43], 0 offset:188 ; 4-byte Folded Reload
	buffer_load_dword v8, off, s[40:43], 0 offset:480 ; 4-byte Folded Reload
	buffer_load_dword v9, off, s[40:43], 0 offset:484 ; 4-byte Folded Reload
	buffer_load_dword v10, off, s[40:43], 0 offset:488 ; 4-byte Folded Reload
	buffer_load_dword v11, off, s[40:43], 0 offset:492 ; 4-byte Folded Reload
	buffer_load_dword v18, off, s[40:43], 0 offset:240 ; 4-byte Folded Reload
	buffer_load_dword v19, off, s[40:43], 0 offset:244 ; 4-byte Folded Reload
	buffer_load_dword v20, off, s[40:43], 0 offset:248 ; 4-byte Folded Reload
	buffer_load_dword v21, off, s[40:43], 0 offset:252 ; 4-byte Folded Reload
	buffer_load_dword v32, off, s[40:43], 0 offset:464 ; 4-byte Folded Reload
	buffer_load_dword v33, off, s[40:43], 0 offset:468 ; 4-byte Folded Reload
	buffer_load_dword v34, off, s[40:43], 0 offset:472 ; 4-byte Folded Reload
	buffer_load_dword v35, off, s[40:43], 0 offset:476 ; 4-byte Folded Reload
	s_waitcnt vmcnt(26)
	v_fma_f64 v[0:1], v[56:57], v[48:49], 0
	s_waitcnt vmcnt(18)
	v_fma_f64 v[4:5], v[4:5], v[48:49], 0
	v_fma_f64 v[2:3], v[58:59], v[48:49], 0
	s_waitcnt vmcnt(10)
	v_fma_f64 v[8:9], v[8:9], v[48:49], 0
	v_fma_f64 v[6:7], v[6:7], v[48:49], 0
	;; [unrolled: 1-line block ×4, first 2 shown]
	s_waitcnt vmcnt(8)
	v_fma_f64 v[12:13], v[10:11], v[48:49], 0
	s_waitcnt vmcnt(6)
	v_fma_f64 v[8:9], v[18:19], v[50:51], v[8:9]
	buffer_load_dword v16, off, s[40:43], 0 offset:272 ; 4-byte Folded Reload
	buffer_load_dword v17, off, s[40:43], 0 offset:276 ; 4-byte Folded Reload
	buffer_load_dword v18, off, s[40:43], 0 offset:280 ; 4-byte Folded Reload
	buffer_load_dword v19, off, s[40:43], 0 offset:284 ; 4-byte Folded Reload
	v_fma_f64 v[6:7], v[14:15], v[50:51], v[6:7]
	s_waitcnt vmcnt(6)
	v_fma_f64 v[14:15], v[32:33], v[48:49], 0
	v_fma_f64 v[2:3], v[30:31], v[50:51], v[2:3]
	;; [unrolled: 1-line block ×3, first 2 shown]
	s_waitcnt vmcnt(2)
	v_fma_f64 v[14:15], v[16:17], v[50:51], v[14:15]
	v_fma_f64 v[16:17], v[34:35], v[48:49], 0
	s_waitcnt vmcnt(0)
	v_fma_f64 v[16:17], v[18:19], v[50:51], v[16:17]
	buffer_load_dword v18, off, s[40:43], 0 offset:96 ; 4-byte Folded Reload
	buffer_load_dword v19, off, s[40:43], 0 offset:100 ; 4-byte Folded Reload
	;; [unrolled: 1-line block ×4, first 2 shown]
	v_mov_b32_e32 v48, v56
	v_mov_b32_e32 v49, v57
	;; [unrolled: 1-line block ×4, first 2 shown]
	s_waitcnt vmcnt(2)
	v_fma_f64 v[0:1], v[18:19], v[40:41], v[0:1]
	s_waitcnt vmcnt(0)
	v_fma_f64 v[2:3], v[20:21], v[40:41], v[2:3]
	buffer_load_dword v18, off, s[40:43], 0 offset:80 ; 4-byte Folded Reload
	buffer_load_dword v19, off, s[40:43], 0 offset:84 ; 4-byte Folded Reload
	buffer_load_dword v20, off, s[40:43], 0 offset:88 ; 4-byte Folded Reload
	buffer_load_dword v21, off, s[40:43], 0 offset:92 ; 4-byte Folded Reload
	s_waitcnt vmcnt(2)
	v_fma_f64 v[4:5], v[18:19], v[40:41], v[4:5]
	s_waitcnt vmcnt(0)
	v_fma_f64 v[6:7], v[20:21], v[40:41], v[6:7]
	buffer_load_dword v18, off, s[40:43], 0 offset:496 ; 4-byte Folded Reload
	buffer_load_dword v19, off, s[40:43], 0 offset:500 ; 4-byte Folded Reload
	buffer_load_dword v20, off, s[40:43], 0 offset:504 ; 4-byte Folded Reload
	buffer_load_dword v21, off, s[40:43], 0 offset:508 ; 4-byte Folded Reload
	;; [unrolled: 8-line block ×9, first 2 shown]
	s_waitcnt vmcnt(2)
	v_fma_f64 v[4:5], v[18:19], v[52:53], v[4:5]
	s_waitcnt vmcnt(0)
	v_fma_f64 v[6:7], v[20:21], v[52:53], v[6:7]
	buffer_load_dword v18, off, s[40:43], 0 ; 4-byte Folded Reload
	buffer_load_dword v19, off, s[40:43], 0 offset:4 ; 4-byte Folded Reload
	buffer_load_dword v20, off, s[40:43], 0 offset:8 ; 4-byte Folded Reload
	buffer_load_dword v21, off, s[40:43], 0 offset:12 ; 4-byte Folded Reload
	s_waitcnt vmcnt(2)
	v_fma_f64 v[8:9], v[18:19], v[52:53], v[8:9]
	s_waitcnt vmcnt(0)
	v_fma_f64 v[12:13], v[20:21], v[52:53], v[12:13]
	buffer_load_dword v18, off, s[40:43], 0 offset:32 ; 4-byte Folded Reload
	buffer_load_dword v19, off, s[40:43], 0 offset:36 ; 4-byte Folded Reload
	buffer_load_dword v20, off, s[40:43], 0 offset:40 ; 4-byte Folded Reload
	buffer_load_dword v21, off, s[40:43], 0 offset:44 ; 4-byte Folded Reload
	s_waitcnt vmcnt(2)
	v_fma_f64 v[14:15], v[18:19], v[52:53], v[14:15]
	s_waitcnt vmcnt(0)
	v_fma_f64 v[16:17], v[20:21], v[52:53], v[16:17]
	buffer_load_dword v18, off, s[40:43], 0 offset:384 ; 4-byte Folded Reload
	;; [unrolled: 8-line block ×6, first 2 shown]
	buffer_load_dword v21, off, s[40:43], 0 offset:532 ; 4-byte Folded Reload
	buffer_load_dword v22, off, s[40:43], 0 offset:536 ; 4-byte Folded Reload
	;; [unrolled: 1-line block ×11, first 2 shown]
	s_waitcnt vmcnt(6)
	v_fma_f64 v[0:1], v[52:53], v[20:21], v[0:1]
	s_waitcnt vmcnt(2)
	v_fma_f64 v[4:5], v[40:41], v[20:21], v[4:5]
	v_fma_f64 v[2:3], v[54:55], v[20:21], v[2:3]
	s_waitcnt vmcnt(0)
	v_fma_f64 v[6:7], v[42:43], v[20:21], v[6:7]
	buffer_load_dword v40, off, s[40:43], 0 offset:16 ; 4-byte Folded Reload
	buffer_load_dword v41, off, s[40:43], 0 offset:20 ; 4-byte Folded Reload
	;; [unrolled: 1-line block ×4, first 2 shown]
	s_waitcnt vmcnt(2)
	v_fma_f64 v[18:19], v[40:41], v[20:21], v[8:9]
	buffer_load_dword v8, off, s[40:43], 0 offset:160 ; 4-byte Folded Reload
	buffer_load_dword v9, off, s[40:43], 0 offset:164 ; 4-byte Folded Reload
	;; [unrolled: 1-line block ×4, first 2 shown]
	s_waitcnt vmcnt(4)
	v_fma_f64 v[12:13], v[42:43], v[20:21], v[12:13]
	s_waitcnt vmcnt(2)
	v_fma_f64 v[14:15], v[8:9], v[20:21], v[14:15]
	;; [unrolled: 2-line block ×3, first 2 shown]
	buffer_load_dword v8, off, s[40:43], 0 offset:192 ; 4-byte Folded Reload
	buffer_load_dword v9, off, s[40:43], 0 offset:196 ; 4-byte Folded Reload
	;; [unrolled: 1-line block ×4, first 2 shown]
	s_waitcnt vmcnt(2)
	v_fma_f64 v[0:1], v[8:9], v[22:23], v[0:1]
	buffer_store_dword v0, off, s[40:43], 0 offset:1160 ; 4-byte Folded Spill
	s_nop 0
	buffer_store_dword v1, off, s[40:43], 0 offset:1164 ; 4-byte Folded Spill
	s_waitcnt vmcnt(2)
	v_fma_f64 v[0:1], v[10:11], v[22:23], v[2:3]
	buffer_store_dword v0, off, s[40:43], 0 offset:1120 ; 4-byte Folded Spill
	s_nop 0
	buffer_store_dword v1, off, s[40:43], 0 offset:1124 ; 4-byte Folded Spill
	buffer_load_dword v0, off, s[40:43], 0 offset:368 ; 4-byte Folded Reload
	s_nop 0
	buffer_load_dword v1, off, s[40:43], 0 offset:372 ; 4-byte Folded Reload
	buffer_load_dword v2, off, s[40:43], 0 offset:376 ; 4-byte Folded Reload
	buffer_load_dword v3, off, s[40:43], 0 offset:380 ; 4-byte Folded Reload
	s_waitcnt vmcnt(2)
	v_fma_f64 v[0:1], v[0:1], v[22:23], v[4:5]
	buffer_store_dword v0, off, s[40:43], 0 offset:1280 ; 4-byte Folded Spill
	s_nop 0
	buffer_store_dword v1, off, s[40:43], 0 offset:1284 ; 4-byte Folded Spill
	s_waitcnt vmcnt(2)
	v_fma_f64 v[0:1], v[2:3], v[22:23], v[6:7]
	buffer_store_dword v0, off, s[40:43], 0 offset:1096 ; 4-byte Folded Spill
	s_nop 0
	buffer_store_dword v1, off, s[40:43], 0 offset:1100 ; 4-byte Folded Spill
	buffer_load_dword v0, off, s[40:43], 0 offset:304 ; 4-byte Folded Reload
	s_nop 0
	buffer_load_dword v1, off, s[40:43], 0 offset:308 ; 4-byte Folded Reload
	buffer_load_dword v2, off, s[40:43], 0 offset:312 ; 4-byte Folded Reload
	buffer_load_dword v3, off, s[40:43], 0 offset:316 ; 4-byte Folded Reload
	;; [unrolled: 15-line block ×3, first 2 shown]
	s_waitcnt vmcnt(2)
	v_fma_f64 v[0:1], v[0:1], v[22:23], v[14:15]
	buffer_store_dword v0, off, s[40:43], 0 offset:544 ; 4-byte Folded Spill
	s_nop 0
	buffer_store_dword v1, off, s[40:43], 0 offset:548 ; 4-byte Folded Spill
	s_waitcnt vmcnt(2)
	v_fma_f64 v[0:1], v[2:3], v[22:23], v[16:17]
	buffer_store_dword v0, off, s[40:43], 0 offset:528 ; 4-byte Folded Spill
	s_nop 0
	buffer_store_dword v1, off, s[40:43], 0 offset:532 ; 4-byte Folded Spill
	v_fma_f64 v[0:1], v[56:57], v[36:37], 0
	v_mov_b32_e32 v2, v28
	v_mov_b32_e32 v3, v29
	;; [unrolled: 1-line block ×7, first 2 shown]
	v_fma_f64 v[0:1], v[2:3], v[38:39], v[0:1]
	v_fma_f64 v[2:3], v[58:59], v[36:37], 0
	v_mov_b32_e32 v23, v35
	v_fma_f64 v[2:3], v[4:5], v[38:39], v[2:3]
	buffer_load_dword v4, off, s[40:43], 0 offset:416 ; 4-byte Folded Reload
	buffer_load_dword v5, off, s[40:43], 0 offset:420 ; 4-byte Folded Reload
	;; [unrolled: 1-line block ×12, first 2 shown]
	s_waitcnt vmcnt(10)
	v_fma_f64 v[4:5], v[4:5], v[36:37], 0
	s_waitcnt vmcnt(8)
	v_fma_f64 v[6:7], v[6:7], v[36:37], 0
	s_waitcnt vmcnt(0)
	v_mov_b32_e32 v43, v11
	v_mov_b32_e32 v42, v10
	;; [unrolled: 1-line block ×4, first 2 shown]
	v_fma_f64 v[4:5], v[12:13], v[38:39], v[4:5]
	v_fma_f64 v[12:13], v[8:9], v[36:37], 0
	;; [unrolled: 1-line block ×3, first 2 shown]
	buffer_load_dword v14, off, s[40:43], 0 offset:240 ; 4-byte Folded Reload
	buffer_load_dword v15, off, s[40:43], 0 offset:244 ; 4-byte Folded Reload
	;; [unrolled: 1-line block ×8, first 2 shown]
	s_waitcnt vmcnt(6)
	v_fma_f64 v[12:13], v[14:15], v[38:39], v[12:13]
	v_fma_f64 v[14:15], v[10:11], v[36:37], 0
	v_mov_b32_e32 v8, v32
	v_mov_b32_e32 v9, v33
	v_mov_b32_e32 v10, v34
	v_mov_b32_e32 v11, v35
	v_fma_f64 v[18:19], v[10:11], v[36:37], 0
	s_waitcnt vmcnt(0)
	v_mov_b32_e32 v35, v31
	v_mov_b32_e32 v34, v30
	v_fma_f64 v[14:15], v[16:17], v[38:39], v[14:15]
	v_fma_f64 v[16:17], v[8:9], v[36:37], 0
	v_mov_b32_e32 v33, v29
	v_mov_b32_e32 v32, v28
	v_fma_f64 v[18:19], v[30:31], v[38:39], v[18:19]
	v_fma_f64 v[16:17], v[28:29], v[38:39], v[16:17]
	buffer_load_dword v8, off, s[40:43], 0 offset:752 ; 4-byte Folded Reload
	buffer_load_dword v9, off, s[40:43], 0 offset:756 ; 4-byte Folded Reload
	;; [unrolled: 1-line block ×8, first 2 shown]
	s_waitcnt vmcnt(2)
	v_fma_f64 v[0:1], v[28:29], v[8:9], v[0:1]
	s_waitcnt vmcnt(0)
	v_fma_f64 v[2:3], v[30:31], v[8:9], v[2:3]
	buffer_load_dword v28, off, s[40:43], 0 offset:80 ; 4-byte Folded Reload
	buffer_load_dword v29, off, s[40:43], 0 offset:84 ; 4-byte Folded Reload
	buffer_load_dword v30, off, s[40:43], 0 offset:88 ; 4-byte Folded Reload
	buffer_load_dword v31, off, s[40:43], 0 offset:92 ; 4-byte Folded Reload
	s_waitcnt vmcnt(2)
	v_fma_f64 v[4:5], v[28:29], v[8:9], v[4:5]
	s_waitcnt vmcnt(0)
	v_fma_f64 v[6:7], v[30:31], v[8:9], v[6:7]
	buffer_load_dword v28, off, s[40:43], 0 offset:496 ; 4-byte Folded Reload
	buffer_load_dword v29, off, s[40:43], 0 offset:500 ; 4-byte Folded Reload
	buffer_load_dword v30, off, s[40:43], 0 offset:504 ; 4-byte Folded Reload
	buffer_load_dword v31, off, s[40:43], 0 offset:508 ; 4-byte Folded Reload
	;; [unrolled: 8-line block ×9, first 2 shown]
	s_waitcnt vmcnt(2)
	v_fma_f64 v[4:5], v[8:9], v[44:45], v[4:5]
	s_waitcnt vmcnt(0)
	v_fma_f64 v[6:7], v[10:11], v[44:45], v[6:7]
	buffer_load_dword v8, off, s[40:43], 0  ; 4-byte Folded Reload
	buffer_load_dword v9, off, s[40:43], 0 offset:4 ; 4-byte Folded Reload
	buffer_load_dword v10, off, s[40:43], 0 offset:8 ; 4-byte Folded Reload
	buffer_load_dword v11, off, s[40:43], 0 offset:12 ; 4-byte Folded Reload
	s_waitcnt vmcnt(2)
	v_fma_f64 v[12:13], v[8:9], v[44:45], v[12:13]
	s_waitcnt vmcnt(0)
	v_fma_f64 v[14:15], v[10:11], v[44:45], v[14:15]
	buffer_load_dword v8, off, s[40:43], 0 offset:32 ; 4-byte Folded Reload
	buffer_load_dword v9, off, s[40:43], 0 offset:36 ; 4-byte Folded Reload
	buffer_load_dword v10, off, s[40:43], 0 offset:40 ; 4-byte Folded Reload
	buffer_load_dword v11, off, s[40:43], 0 offset:44 ; 4-byte Folded Reload
	s_waitcnt vmcnt(2)
	v_fma_f64 v[16:17], v[8:9], v[44:45], v[16:17]
	s_waitcnt vmcnt(0)
	v_fma_f64 v[18:19], v[10:11], v[44:45], v[18:19]
	buffer_load_dword v8, off, s[40:43], 0 offset:384 ; 4-byte Folded Reload
	;; [unrolled: 8-line block ×3, first 2 shown]
	buffer_load_dword v9, off, s[40:43], 0 offset:228 ; 4-byte Folded Reload
	buffer_load_dword v10, off, s[40:43], 0 offset:232 ; 4-byte Folded Reload
	;; [unrolled: 1-line block ×7, first 2 shown]
	s_waitcnt vmcnt(6)
	v_fma_f64 v[4:5], v[8:9], v[46:47], v[4:5]
	s_waitcnt vmcnt(2)
	v_fma_f64 v[12:13], v[56:57], v[46:47], v[12:13]
	v_fma_f64 v[6:7], v[10:11], v[46:47], v[6:7]
	buffer_load_dword v8, off, s[40:43], 0 offset:288 ; 4-byte Folded Reload
	buffer_load_dword v9, off, s[40:43], 0 offset:292 ; 4-byte Folded Reload
	;; [unrolled: 1-line block ×4, first 2 shown]
	s_waitcnt vmcnt(4)
	v_fma_f64 v[14:15], v[58:59], v[46:47], v[14:15]
	s_waitcnt vmcnt(2)
	v_fma_f64 v[16:17], v[8:9], v[46:47], v[16:17]
	;; [unrolled: 2-line block ×3, first 2 shown]
	buffer_load_dword v8, off, s[40:43], 0 offset:512 ; 4-byte Folded Reload
	buffer_load_dword v9, off, s[40:43], 0 offset:516 ; 4-byte Folded Reload
	;; [unrolled: 1-line block ×8, first 2 shown]
	v_mov_b32_e32 v44, v52
	v_mov_b32_e32 v45, v53
	;; [unrolled: 1-line block ×4, first 2 shown]
	s_waitcnt vmcnt(6)
	v_fma_f64 v[0:1], v[44:45], v[8:9], v[0:1]
	s_waitcnt vmcnt(2)
	v_fma_f64 v[4:5], v[28:29], v[8:9], v[4:5]
	v_fma_f64 v[2:3], v[46:47], v[8:9], v[2:3]
	s_waitcnt vmcnt(0)
	v_fma_f64 v[6:7], v[30:31], v[8:9], v[6:7]
	buffer_load_dword v28, off, s[40:43], 0 offset:16 ; 4-byte Folded Reload
	buffer_load_dword v29, off, s[40:43], 0 offset:20 ; 4-byte Folded Reload
	buffer_load_dword v30, off, s[40:43], 0 offset:24 ; 4-byte Folded Reload
	buffer_load_dword v31, off, s[40:43], 0 offset:28 ; 4-byte Folded Reload
	s_waitcnt vmcnt(2)
	v_fma_f64 v[12:13], v[28:29], v[8:9], v[12:13]
	s_waitcnt vmcnt(0)
	v_fma_f64 v[14:15], v[30:31], v[8:9], v[14:15]
	buffer_load_dword v28, off, s[40:43], 0 offset:160 ; 4-byte Folded Reload
	buffer_load_dword v29, off, s[40:43], 0 offset:164 ; 4-byte Folded Reload
	buffer_load_dword v30, off, s[40:43], 0 offset:168 ; 4-byte Folded Reload
	buffer_load_dword v31, off, s[40:43], 0 offset:172 ; 4-byte Folded Reload
	s_waitcnt vmcnt(2)
	;; [unrolled: 8-line block ×3, first 2 shown]
	v_fma_f64 v[0:1], v[28:29], v[10:11], v[0:1]
	buffer_store_dword v0, off, s[40:43], 0 offset:1328 ; 4-byte Folded Spill
	s_nop 0
	buffer_store_dword v1, off, s[40:43], 0 offset:1332 ; 4-byte Folded Spill
	s_waitcnt vmcnt(2)
	v_fma_f64 v[0:1], v[30:31], v[10:11], v[2:3]
	buffer_store_dword v0, off, s[40:43], 0 offset:1136 ; 4-byte Folded Spill
	s_nop 0
	buffer_store_dword v1, off, s[40:43], 0 offset:1140 ; 4-byte Folded Spill
	buffer_load_dword v0, off, s[40:43], 0 offset:368 ; 4-byte Folded Reload
	s_nop 0
	buffer_load_dword v1, off, s[40:43], 0 offset:372 ; 4-byte Folded Reload
	buffer_load_dword v2, off, s[40:43], 0 offset:376 ; 4-byte Folded Reload
	;; [unrolled: 1-line block ×3, first 2 shown]
	v_mov_b32_e32 v31, v23
	v_mov_b32_e32 v29, v21
	;; [unrolled: 1-line block ×8, first 2 shown]
	s_waitcnt vmcnt(2)
	v_fma_f64 v[0:1], v[0:1], v[10:11], v[4:5]
	buffer_store_dword v0, off, s[40:43], 0 offset:1296 ; 4-byte Folded Spill
	s_nop 0
	buffer_store_dword v1, off, s[40:43], 0 offset:1300 ; 4-byte Folded Spill
	s_waitcnt vmcnt(2)
	v_fma_f64 v[0:1], v[2:3], v[10:11], v[6:7]
	buffer_store_dword v0, off, s[40:43], 0 offset:1248 ; 4-byte Folded Spill
	s_nop 0
	buffer_store_dword v1, off, s[40:43], 0 offset:1252 ; 4-byte Folded Spill
	buffer_load_dword v0, off, s[40:43], 0 offset:304 ; 4-byte Folded Reload
	s_nop 0
	buffer_load_dword v1, off, s[40:43], 0 offset:308 ; 4-byte Folded Reload
	buffer_load_dword v2, off, s[40:43], 0 offset:312 ; 4-byte Folded Reload
	;; [unrolled: 1-line block ×3, first 2 shown]
	v_fma_f64 v[4:5], v[50:51], v[24:25], 0
	s_waitcnt vmcnt(2)
	v_fma_f64 v[0:1], v[0:1], v[10:11], v[12:13]
	buffer_store_dword v0, off, s[40:43], 0 offset:1056 ; 4-byte Folded Spill
	s_nop 0
	buffer_store_dword v1, off, s[40:43], 0 offset:1060 ; 4-byte Folded Spill
	s_waitcnt vmcnt(2)
	v_fma_f64 v[0:1], v[2:3], v[10:11], v[14:15]
	buffer_store_dword v0, off, s[40:43], 0 offset:896 ; 4-byte Folded Spill
	s_nop 0
	buffer_store_dword v1, off, s[40:43], 0 offset:900 ; 4-byte Folded Spill
	buffer_load_dword v0, off, s[40:43], 0 offset:256 ; 4-byte Folded Reload
	s_nop 0
	buffer_load_dword v1, off, s[40:43], 0 offset:260 ; 4-byte Folded Reload
	buffer_load_dword v2, off, s[40:43], 0 offset:264 ; 4-byte Folded Reload
	buffer_load_dword v3, off, s[40:43], 0 offset:268 ; 4-byte Folded Reload
	v_fma_f64 v[14:15], v[40:41], v[24:25], 0
	s_waitcnt vmcnt(2)
	v_fma_f64 v[0:1], v[0:1], v[10:11], v[16:17]
	buffer_store_dword v0, off, s[40:43], 0 offset:704 ; 4-byte Folded Spill
	s_nop 0
	buffer_store_dword v1, off, s[40:43], 0 offset:708 ; 4-byte Folded Spill
	s_waitcnt vmcnt(2)
	v_fma_f64 v[0:1], v[2:3], v[10:11], v[18:19]
	buffer_store_dword v0, off, s[40:43], 0 offset:512 ; 4-byte Folded Spill
	s_nop 0
	buffer_store_dword v1, off, s[40:43], 0 offset:516 ; 4-byte Folded Spill
	buffer_load_dword v52, off, s[40:43], 0 offset:320 ; 4-byte Folded Reload
	buffer_load_dword v53, off, s[40:43], 0 offset:324 ; 4-byte Folded Reload
	;; [unrolled: 1-line block ×12, first 2 shown]
	v_fma_f64 v[18:19], v[28:29], v[24:25], 0
	v_fma_f64 v[0:1], v[48:49], v[24:25], 0
	;; [unrolled: 1-line block ×6, first 2 shown]
	s_waitcnt vmcnt(10)
	v_fma_f64 v[0:1], v[52:53], v[26:27], v[0:1]
	s_waitcnt vmcnt(6)
	v_fma_f64 v[6:7], v[36:37], v[24:25], 0
	v_fma_f64 v[4:5], v[54:55], v[26:27], v[4:5]
	s_waitcnt vmcnt(4)
	v_fma_f64 v[12:13], v[38:39], v[24:25], 0
	s_waitcnt vmcnt(2)
	;; [unrolled: 2-line block ×3, first 2 shown]
	v_fma_f64 v[12:13], v[10:11], v[26:27], v[12:13]
	buffer_load_dword v8, off, s[40:43], 0 offset:240 ; 4-byte Folded Reload
	buffer_load_dword v9, off, s[40:43], 0 offset:244 ; 4-byte Folded Reload
	;; [unrolled: 1-line block ×12, first 2 shown]
	s_waitcnt vmcnt(10)
	v_fma_f64 v[14:15], v[8:9], v[26:27], v[14:15]
	s_waitcnt vmcnt(2)
	v_fma_f64 v[0:1], v[32:33], v[22:23], v[0:1]
	v_fma_f64 v[16:17], v[10:11], v[26:27], v[16:17]
	s_waitcnt vmcnt(0)
	v_fma_f64 v[4:5], v[34:35], v[22:23], v[4:5]
	buffer_load_dword v32, off, s[40:43], 0 offset:80 ; 4-byte Folded Reload
	buffer_load_dword v33, off, s[40:43], 0 offset:84 ; 4-byte Folded Reload
	buffer_load_dword v34, off, s[40:43], 0 offset:88 ; 4-byte Folded Reload
	buffer_load_dword v35, off, s[40:43], 0 offset:92 ; 4-byte Folded Reload
	s_waitcnt vmcnt(2)
	v_fma_f64 v[6:7], v[32:33], v[22:23], v[6:7]
	s_waitcnt vmcnt(0)
	v_fma_f64 v[12:13], v[34:35], v[22:23], v[12:13]
	buffer_load_dword v32, off, s[40:43], 0 offset:496 ; 4-byte Folded Reload
	buffer_load_dword v33, off, s[40:43], 0 offset:500 ; 4-byte Folded Reload
	buffer_load_dword v34, off, s[40:43], 0 offset:504 ; 4-byte Folded Reload
	buffer_load_dword v35, off, s[40:43], 0 offset:508 ; 4-byte Folded Reload
	s_waitcnt vmcnt(2)
	;; [unrolled: 8-line block ×7, first 2 shown]
	v_fma_f64 v[18:19], v[32:33], v[24:25], v[18:19]
	s_waitcnt vmcnt(0)
	v_fma_f64 v[20:21], v[34:35], v[24:25], v[20:21]
	buffer_load_dword v22, off, s[40:43], 0 offset:768 ; 4-byte Folded Reload
	buffer_load_dword v23, off, s[40:43], 0 offset:772 ; 4-byte Folded Reload
	;; [unrolled: 1-line block ×8, first 2 shown]
	s_waitcnt vmcnt(2)
	v_fma_f64 v[0:1], v[32:33], v[22:23], v[0:1]
	s_waitcnt vmcnt(0)
	v_fma_f64 v[4:5], v[34:35], v[22:23], v[4:5]
	buffer_load_dword v32, off, s[40:43], 0 offset:144 ; 4-byte Folded Reload
	buffer_load_dword v33, off, s[40:43], 0 offset:148 ; 4-byte Folded Reload
	buffer_load_dword v34, off, s[40:43], 0 offset:152 ; 4-byte Folded Reload
	buffer_load_dword v35, off, s[40:43], 0 offset:156 ; 4-byte Folded Reload
	s_waitcnt vmcnt(2)
	v_fma_f64 v[6:7], v[32:33], v[22:23], v[6:7]
	s_waitcnt vmcnt(0)
	v_fma_f64 v[12:13], v[34:35], v[22:23], v[12:13]
	buffer_load_dword v32, off, s[40:43], 0 ; 4-byte Folded Reload
	buffer_load_dword v33, off, s[40:43], 0 offset:4 ; 4-byte Folded Reload
	buffer_load_dword v34, off, s[40:43], 0 offset:8 ; 4-byte Folded Reload
	;; [unrolled: 1-line block ×3, first 2 shown]
	s_waitcnt vmcnt(2)
	v_fma_f64 v[14:15], v[32:33], v[22:23], v[14:15]
	s_waitcnt vmcnt(0)
	v_fma_f64 v[16:17], v[34:35], v[22:23], v[16:17]
	buffer_load_dword v32, off, s[40:43], 0 offset:32 ; 4-byte Folded Reload
	buffer_load_dword v33, off, s[40:43], 0 offset:36 ; 4-byte Folded Reload
	buffer_load_dword v34, off, s[40:43], 0 offset:40 ; 4-byte Folded Reload
	buffer_load_dword v35, off, s[40:43], 0 offset:44 ; 4-byte Folded Reload
	v_fma_f64 v[14:15], v[56:57], v[24:25], v[14:15]
	v_fma_f64 v[16:17], v[58:59], v[24:25], v[16:17]
	s_waitcnt vmcnt(2)
	v_fma_f64 v[18:19], v[32:33], v[22:23], v[18:19]
	s_waitcnt vmcnt(0)
	v_fma_f64 v[20:21], v[34:35], v[22:23], v[20:21]
	buffer_load_dword v32, off, s[40:43], 0 offset:384 ; 4-byte Folded Reload
	buffer_load_dword v33, off, s[40:43], 0 offset:388 ; 4-byte Folded Reload
	;; [unrolled: 1-line block ×4, first 2 shown]
	s_waitcnt vmcnt(2)
	v_fma_f64 v[0:1], v[32:33], v[24:25], v[0:1]
	s_waitcnt vmcnt(0)
	v_fma_f64 v[4:5], v[34:35], v[24:25], v[4:5]
	buffer_load_dword v32, off, s[40:43], 0 offset:224 ; 4-byte Folded Reload
	buffer_load_dword v33, off, s[40:43], 0 offset:228 ; 4-byte Folded Reload
	;; [unrolled: 1-line block ×4, first 2 shown]
	v_fma_f64 v[0:1], v[44:45], v[60:61], v[0:1]
	v_fma_f64 v[4:5], v[46:47], v[60:61], v[4:5]
	v_mov_b32_e32 v47, v39
	v_mov_b32_e32 v46, v38
	;; [unrolled: 1-line block ×4, first 2 shown]
	s_waitcnt vmcnt(2)
	v_fma_f64 v[6:7], v[32:33], v[24:25], v[6:7]
	s_waitcnt vmcnt(0)
	v_fma_f64 v[12:13], v[34:35], v[24:25], v[12:13]
	buffer_load_dword v32, off, s[40:43], 0 offset:288 ; 4-byte Folded Reload
	buffer_load_dword v33, off, s[40:43], 0 offset:292 ; 4-byte Folded Reload
	buffer_load_dword v34, off, s[40:43], 0 offset:296 ; 4-byte Folded Reload
	buffer_load_dword v35, off, s[40:43], 0 offset:300 ; 4-byte Folded Reload
	s_waitcnt vmcnt(2)
	v_fma_f64 v[18:19], v[32:33], v[24:25], v[18:19]
	s_waitcnt vmcnt(0)
	v_fma_f64 v[20:21], v[34:35], v[24:25], v[20:21]
	buffer_load_dword v22, off, s[40:43], 0 offset:48 ; 4-byte Folded Reload
	buffer_load_dword v23, off, s[40:43], 0 offset:52 ; 4-byte Folded Reload
	buffer_load_dword v24, off, s[40:43], 0 offset:56 ; 4-byte Folded Reload
	buffer_load_dword v25, off, s[40:43], 0 offset:60 ; 4-byte Folded Reload
	;; [unrolled: 8-line block ×4, first 2 shown]
	buffer_load_dword v32, off, s[40:43], 0 offset:192 ; 4-byte Folded Reload
	buffer_load_dword v33, off, s[40:43], 0 offset:196 ; 4-byte Folded Reload
	;; [unrolled: 1-line block ×4, first 2 shown]
	s_waitcnt vmcnt(6)
	v_fma_f64 v[18:19], v[24:25], v[60:61], v[18:19]
	s_waitcnt vmcnt(4)
	v_fma_f64 v[24:25], v[26:27], v[60:61], v[20:21]
	;; [unrolled: 2-line block ×4, first 2 shown]
	buffer_store_dword v0, off, s[40:43], 0 offset:1152 ; 4-byte Folded Spill
	s_nop 0
	buffer_store_dword v1, off, s[40:43], 0 offset:1156 ; 4-byte Folded Spill
	buffer_load_dword v0, off, s[40:43], 0 offset:368 ; 4-byte Folded Reload
	s_nop 0
	buffer_load_dword v1, off, s[40:43], 0 offset:372 ; 4-byte Folded Reload
	buffer_load_dword v2, off, s[40:43], 0 offset:376 ; 4-byte Folded Reload
	buffer_load_dword v3, off, s[40:43], 0 offset:380 ; 4-byte Folded Reload
	s_waitcnt vmcnt(2)
	v_fma_f64 v[0:1], v[0:1], v[62:63], v[6:7]
	buffer_store_dword v0, off, s[40:43], 0 offset:1304 ; 4-byte Folded Spill
	s_nop 0
	buffer_store_dword v1, off, s[40:43], 0 offset:1308 ; 4-byte Folded Spill
	s_waitcnt vmcnt(2)
	v_fma_f64 v[0:1], v[2:3], v[62:63], v[22:23]
	buffer_store_dword v0, off, s[40:43], 0 offset:1272 ; 4-byte Folded Spill
	s_nop 0
	buffer_store_dword v1, off, s[40:43], 0 offset:1276 ; 4-byte Folded Spill
	buffer_load_dword v0, off, s[40:43], 0 offset:304 ; 4-byte Folded Reload
	s_nop 0
	buffer_load_dword v1, off, s[40:43], 0 offset:308 ; 4-byte Folded Reload
	buffer_load_dword v2, off, s[40:43], 0 offset:312 ; 4-byte Folded Reload
	buffer_load_dword v3, off, s[40:43], 0 offset:316 ; 4-byte Folded Reload
	s_waitcnt vmcnt(2)
	v_fma_f64 v[0:1], v[0:1], v[62:63], v[14:15]
	buffer_store_dword v0, off, s[40:43], 0 offset:1104 ; 4-byte Folded Spill
	s_nop 0
	buffer_store_dword v1, off, s[40:43], 0 offset:1108 ; 4-byte Folded Spill
	s_waitcnt vmcnt(2)
	v_fma_f64 v[0:1], v[2:3], v[62:63], v[16:17]
	;; [unrolled: 15-line block ×3, first 2 shown]
	buffer_store_dword v0, off, s[40:43], 0 offset:592 ; 4-byte Folded Spill
	s_nop 0
	buffer_store_dword v1, off, s[40:43], 0 offset:596 ; 4-byte Folded Spill
	buffer_load_dword v24, off, s[40:43], 0 offset:656 ; 4-byte Folded Reload
	buffer_load_dword v25, off, s[40:43], 0 offset:660 ; 4-byte Folded Reload
	;; [unrolled: 1-line block ×8, first 2 shown]
	s_waitcnt vmcnt(6)
	v_fma_f64 v[6:7], v[36:37], v[24:25], 0
	v_fma_f64 v[22:23], v[28:29], v[24:25], 0
	;; [unrolled: 1-line block ×5, first 2 shown]
	s_waitcnt vmcnt(2)
	v_fma_f64 v[6:7], v[14:15], v[26:27], v[6:7]
	v_fma_f64 v[14:15], v[38:39], v[24:25], 0
	buffer_load_dword v36, off, s[40:43], 0 offset:272 ; 4-byte Folded Reload
	buffer_load_dword v37, off, s[40:43], 0 offset:276 ; 4-byte Folded Reload
	;; [unrolled: 1-line block ×4, first 2 shown]
	v_fma_f64 v[0:1], v[52:53], v[26:27], v[0:1]
	v_fma_f64 v[4:5], v[54:55], v[26:27], v[4:5]
	;; [unrolled: 1-line block ×3, first 2 shown]
	s_waitcnt vmcnt(4)
	v_fma_f64 v[14:15], v[16:17], v[26:27], v[14:15]
	v_fma_f64 v[16:17], v[40:41], v[24:25], 0
	;; [unrolled: 1-line block ×4, first 2 shown]
	s_waitcnt vmcnt(2)
	v_fma_f64 v[22:23], v[36:37], v[26:27], v[22:23]
	v_mov_b32_e32 v37, v31
	v_mov_b32_e32 v36, v30
	;; [unrolled: 1-line block ×4, first 2 shown]
	s_waitcnt vmcnt(0)
	v_fma_f64 v[24:25], v[38:39], v[26:27], v[24:25]
	buffer_load_dword v26, off, s[40:43], 0 offset:640 ; 4-byte Folded Reload
	buffer_load_dword v27, off, s[40:43], 0 offset:644 ; 4-byte Folded Reload
	;; [unrolled: 1-line block ×8, first 2 shown]
	s_waitcnt vmcnt(2)
	v_fma_f64 v[0:1], v[30:31], v[26:27], v[0:1]
	s_waitcnt vmcnt(0)
	v_fma_f64 v[4:5], v[32:33], v[26:27], v[4:5]
	buffer_load_dword v30, off, s[40:43], 0 offset:80 ; 4-byte Folded Reload
	buffer_load_dword v31, off, s[40:43], 0 offset:84 ; 4-byte Folded Reload
	buffer_load_dword v32, off, s[40:43], 0 offset:88 ; 4-byte Folded Reload
	buffer_load_dword v33, off, s[40:43], 0 offset:92 ; 4-byte Folded Reload
	s_waitcnt vmcnt(2)
	v_fma_f64 v[6:7], v[30:31], v[26:27], v[6:7]
	s_waitcnt vmcnt(0)
	v_fma_f64 v[14:15], v[32:33], v[26:27], v[14:15]
	buffer_load_dword v30, off, s[40:43], 0 offset:496 ; 4-byte Folded Reload
	buffer_load_dword v31, off, s[40:43], 0 offset:500 ; 4-byte Folded Reload
	buffer_load_dword v32, off, s[40:43], 0 offset:504 ; 4-byte Folded Reload
	buffer_load_dword v33, off, s[40:43], 0 offset:508 ; 4-byte Folded Reload
	s_waitcnt vmcnt(2)
	v_fma_f64 v[16:17], v[30:31], v[26:27], v[16:17]
	s_waitcnt vmcnt(0)
	v_fma_f64 v[18:19], v[32:33], v[26:27], v[18:19]
	buffer_load_dword v30, off, s[40:43], 0 offset:432 ; 4-byte Folded Reload
	buffer_load_dword v31, off, s[40:43], 0 offset:436 ; 4-byte Folded Reload
	buffer_load_dword v32, off, s[40:43], 0 offset:440 ; 4-byte Folded Reload
	buffer_load_dword v33, off, s[40:43], 0 offset:444 ; 4-byte Folded Reload
	s_waitcnt vmcnt(2)
	v_fma_f64 v[22:23], v[30:31], v[26:27], v[22:23]
	s_waitcnt vmcnt(0)
	v_fma_f64 v[24:25], v[32:33], v[26:27], v[24:25]
	buffer_load_dword v30, off, s[40:43], 0 offset:208 ; 4-byte Folded Reload
	buffer_load_dword v31, off, s[40:43], 0 offset:212 ; 4-byte Folded Reload
	buffer_load_dword v32, off, s[40:43], 0 offset:216 ; 4-byte Folded Reload
	buffer_load_dword v33, off, s[40:43], 0 offset:220 ; 4-byte Folded Reload
	s_waitcnt vmcnt(2)
	v_fma_f64 v[0:1], v[30:31], v[28:29], v[0:1]
	s_waitcnt vmcnt(0)
	v_fma_f64 v[4:5], v[32:33], v[28:29], v[4:5]
	buffer_load_dword v30, off, s[40:43], 0 offset:128 ; 4-byte Folded Reload
	buffer_load_dword v31, off, s[40:43], 0 offset:132 ; 4-byte Folded Reload
	buffer_load_dword v32, off, s[40:43], 0 offset:136 ; 4-byte Folded Reload
	buffer_load_dword v33, off, s[40:43], 0 offset:140 ; 4-byte Folded Reload
	s_waitcnt vmcnt(2)
	v_fma_f64 v[6:7], v[30:31], v[28:29], v[6:7]
	s_waitcnt vmcnt(0)
	v_fma_f64 v[14:15], v[32:33], v[28:29], v[14:15]
	buffer_load_dword v30, off, s[40:43], 0 offset:64 ; 4-byte Folded Reload
	buffer_load_dword v31, off, s[40:43], 0 offset:68 ; 4-byte Folded Reload
	buffer_load_dword v32, off, s[40:43], 0 offset:72 ; 4-byte Folded Reload
	buffer_load_dword v33, off, s[40:43], 0 offset:76 ; 4-byte Folded Reload
	s_waitcnt vmcnt(2)
	v_fma_f64 v[16:17], v[30:31], v[28:29], v[16:17]
	s_waitcnt vmcnt(0)
	v_fma_f64 v[18:19], v[32:33], v[28:29], v[18:19]
	buffer_load_dword v30, off, s[40:43], 0 offset:112 ; 4-byte Folded Reload
	buffer_load_dword v31, off, s[40:43], 0 offset:116 ; 4-byte Folded Reload
	buffer_load_dword v32, off, s[40:43], 0 offset:120 ; 4-byte Folded Reload
	buffer_load_dword v33, off, s[40:43], 0 offset:124 ; 4-byte Folded Reload
	s_waitcnt vmcnt(2)
	v_fma_f64 v[22:23], v[30:31], v[28:29], v[22:23]
	s_waitcnt vmcnt(0)
	v_fma_f64 v[24:25], v[32:33], v[28:29], v[24:25]
	buffer_load_dword v26, off, s[40:43], 0 offset:624 ; 4-byte Folded Reload
	buffer_load_dword v27, off, s[40:43], 0 offset:628 ; 4-byte Folded Reload
	buffer_load_dword v28, off, s[40:43], 0 offset:632 ; 4-byte Folded Reload
	buffer_load_dword v29, off, s[40:43], 0 offset:636 ; 4-byte Folded Reload
	buffer_load_dword v30, off, s[40:43], 0 offset:336 ; 4-byte Folded Reload
	buffer_load_dword v31, off, s[40:43], 0 offset:340 ; 4-byte Folded Reload
	;; [unrolled: 1-line block ×4, first 2 shown]
	s_waitcnt vmcnt(2)
	v_fma_f64 v[0:1], v[30:31], v[26:27], v[0:1]
	s_waitcnt vmcnt(0)
	v_fma_f64 v[4:5], v[32:33], v[26:27], v[4:5]
	buffer_load_dword v30, off, s[40:43], 0 offset:144 ; 4-byte Folded Reload
	buffer_load_dword v31, off, s[40:43], 0 offset:148 ; 4-byte Folded Reload
	buffer_load_dword v32, off, s[40:43], 0 offset:152 ; 4-byte Folded Reload
	buffer_load_dword v33, off, s[40:43], 0 offset:156 ; 4-byte Folded Reload
	s_waitcnt vmcnt(2)
	v_fma_f64 v[6:7], v[30:31], v[26:27], v[6:7]
	s_waitcnt vmcnt(0)
	v_fma_f64 v[14:15], v[32:33], v[26:27], v[14:15]
	buffer_load_dword v30, off, s[40:43], 0 ; 4-byte Folded Reload
	buffer_load_dword v31, off, s[40:43], 0 offset:4 ; 4-byte Folded Reload
	buffer_load_dword v32, off, s[40:43], 0 offset:8 ; 4-byte Folded Reload
	;; [unrolled: 1-line block ×3, first 2 shown]
	s_waitcnt vmcnt(2)
	v_fma_f64 v[16:17], v[30:31], v[26:27], v[16:17]
	s_waitcnt vmcnt(0)
	v_fma_f64 v[18:19], v[32:33], v[26:27], v[18:19]
	buffer_load_dword v30, off, s[40:43], 0 offset:32 ; 4-byte Folded Reload
	buffer_load_dword v31, off, s[40:43], 0 offset:36 ; 4-byte Folded Reload
	buffer_load_dword v32, off, s[40:43], 0 offset:40 ; 4-byte Folded Reload
	buffer_load_dword v33, off, s[40:43], 0 offset:44 ; 4-byte Folded Reload
	v_fma_f64 v[16:17], v[56:57], v[28:29], v[16:17]
	v_fma_f64 v[18:19], v[58:59], v[28:29], v[18:19]
	s_waitcnt vmcnt(2)
	v_fma_f64 v[22:23], v[30:31], v[26:27], v[22:23]
	s_waitcnt vmcnt(0)
	v_fma_f64 v[24:25], v[32:33], v[26:27], v[24:25]
	buffer_load_dword v30, off, s[40:43], 0 offset:384 ; 4-byte Folded Reload
	buffer_load_dword v31, off, s[40:43], 0 offset:388 ; 4-byte Folded Reload
	buffer_load_dword v32, off, s[40:43], 0 offset:392 ; 4-byte Folded Reload
	buffer_load_dword v33, off, s[40:43], 0 offset:396 ; 4-byte Folded Reload
	s_waitcnt vmcnt(2)
	v_fma_f64 v[0:1], v[30:31], v[28:29], v[0:1]
	s_waitcnt vmcnt(0)
	v_fma_f64 v[4:5], v[32:33], v[28:29], v[4:5]
	buffer_load_dword v30, off, s[40:43], 0 offset:224 ; 4-byte Folded Reload
	buffer_load_dword v31, off, s[40:43], 0 offset:228 ; 4-byte Folded Reload
	buffer_load_dword v32, off, s[40:43], 0 offset:232 ; 4-byte Folded Reload
	buffer_load_dword v33, off, s[40:43], 0 offset:236 ; 4-byte Folded Reload
	;; [unrolled: 8-line block ×4, first 2 shown]
	buffer_load_dword v26, off, s[40:43], 0 offset:352 ; 4-byte Folded Reload
	buffer_load_dword v27, off, s[40:43], 0 offset:356 ; 4-byte Folded Reload
	buffer_load_dword v28, off, s[40:43], 0 offset:360 ; 4-byte Folded Reload
	buffer_load_dword v29, off, s[40:43], 0 offset:364 ; 4-byte Folded Reload
	s_waitcnt vmcnt(2)
	v_fma_f64 v[0:1], v[26:27], v[60:61], v[0:1]
	s_waitcnt vmcnt(0)
	v_fma_f64 v[4:5], v[28:29], v[60:61], v[4:5]
	buffer_load_dword v26, off, s[40:43], 0 offset:48 ; 4-byte Folded Reload
	buffer_load_dword v27, off, s[40:43], 0 offset:52 ; 4-byte Folded Reload
	buffer_load_dword v28, off, s[40:43], 0 offset:56 ; 4-byte Folded Reload
	buffer_load_dword v29, off, s[40:43], 0 offset:60 ; 4-byte Folded Reload
	s_waitcnt vmcnt(2)
	v_fma_f64 v[6:7], v[26:27], v[60:61], v[6:7]
	s_waitcnt vmcnt(0)
	v_fma_f64 v[14:15], v[28:29], v[60:61], v[14:15]
	;; [unrolled: 8-line block ×4, first 2 shown]
	buffer_load_dword v28, off, s[40:43], 0 offset:192 ; 4-byte Folded Reload
	buffer_load_dword v29, off, s[40:43], 0 offset:196 ; 4-byte Folded Reload
	;; [unrolled: 1-line block ×4, first 2 shown]
	s_waitcnt vmcnt(2)
	v_fma_f64 v[16:17], v[28:29], v[62:63], v[0:1]
	buffer_load_dword v0, off, s[40:43], 0 offset:368 ; 4-byte Folded Reload
	buffer_load_dword v1, off, s[40:43], 0 offset:372 ; 4-byte Folded Reload
	;; [unrolled: 1-line block ×4, first 2 shown]
	s_waitcnt vmcnt(4)
	v_fma_f64 v[24:25], v[30:31], v[62:63], v[4:5]
	v_mov_b32_e32 v28, v48
	v_mov_b32_e32 v29, v49
	;; [unrolled: 1-line block ×16, first 2 shown]
	s_waitcnt vmcnt(2)
	v_fma_f64 v[0:1], v[0:1], v[62:63], v[6:7]
	buffer_store_dword v0, off, s[40:43], 0 offset:1312 ; 4-byte Folded Spill
	s_nop 0
	buffer_store_dword v1, off, s[40:43], 0 offset:1316 ; 4-byte Folded Spill
	s_waitcnt vmcnt(2)
	v_fma_f64 v[0:1], v[2:3], v[62:63], v[14:15]
	buffer_store_dword v0, off, s[40:43], 0 offset:1336 ; 4-byte Folded Spill
	s_nop 0
	buffer_store_dword v1, off, s[40:43], 0 offset:1340 ; 4-byte Folded Spill
	buffer_load_dword v0, off, s[40:43], 0 offset:304 ; 4-byte Folded Reload
	s_nop 0
	buffer_load_dword v1, off, s[40:43], 0 offset:308 ; 4-byte Folded Reload
	buffer_load_dword v2, off, s[40:43], 0 offset:312 ; 4-byte Folded Reload
	;; [unrolled: 1-line block ×3, first 2 shown]
	s_waitcnt vmcnt(2)
	v_fma_f64 v[0:1], v[0:1], v[62:63], v[26:27]
	buffer_store_dword v0, off, s[40:43], 0 offset:1256 ; 4-byte Folded Spill
	s_nop 0
	buffer_store_dword v1, off, s[40:43], 0 offset:1260 ; 4-byte Folded Spill
	s_waitcnt vmcnt(2)
	v_fma_f64 v[0:1], v[2:3], v[62:63], v[18:19]
	buffer_store_dword v0, off, s[40:43], 0 offset:1064 ; 4-byte Folded Spill
	s_nop 0
	buffer_store_dword v1, off, s[40:43], 0 offset:1068 ; 4-byte Folded Spill
	buffer_load_dword v0, off, s[40:43], 0 offset:256 ; 4-byte Folded Reload
	s_nop 0
	buffer_load_dword v1, off, s[40:43], 0 offset:260 ; 4-byte Folded Reload
	buffer_load_dword v2, off, s[40:43], 0 offset:264 ; 4-byte Folded Reload
	;; [unrolled: 1-line block ×3, first 2 shown]
	s_waitcnt vmcnt(2)
	v_fma_f64 v[0:1], v[0:1], v[62:63], v[22:23]
	buffer_store_dword v0, off, s[40:43], 0 offset:640 ; 4-byte Folded Spill
	s_nop 0
	buffer_store_dword v1, off, s[40:43], 0 offset:644 ; 4-byte Folded Spill
	s_waitcnt vmcnt(2)
	v_fma_f64 v[0:1], v[2:3], v[62:63], v[32:33]
	buffer_store_dword v0, off, s[40:43], 0 offset:624 ; 4-byte Folded Spill
	s_nop 0
	buffer_store_dword v1, off, s[40:43], 0 offset:628 ; 4-byte Folded Spill
	buffer_load_dword v60, off, s[40:43], 0 offset:608 ; 4-byte Folded Reload
	buffer_load_dword v61, off, s[40:43], 0 offset:612 ; 4-byte Folded Reload
	;; [unrolled: 1-line block ×4, first 2 shown]
	v_mov_b32_e32 v2, v52
	v_mov_b32_e32 v3, v53
	;; [unrolled: 1-line block ×4, first 2 shown]
	s_waitcnt vmcnt(2)
	v_fma_f64 v[0:1], v[28:29], v[60:61], 0
	v_fma_f64 v[6:7], v[30:31], v[60:61], 0
	v_fma_f64 v[14:15], v[48:49], v[60:61], 0
	v_fma_f64 v[18:19], v[50:51], v[60:61], 0
	v_fma_f64 v[32:33], v[34:35], v[60:61], 0
	v_fma_f64 v[38:39], v[36:37], v[60:61], 0
	v_fma_f64 v[22:23], v[44:45], v[60:61], 0
	v_fma_f64 v[26:27], v[46:47], v[60:61], 0
	s_waitcnt vmcnt(0)
	v_fma_f64 v[0:1], v[2:3], v[62:63], v[0:1]
	v_fma_f64 v[6:7], v[4:5], v[62:63], v[6:7]
	buffer_load_dword v2, off, s[40:43], 0 offset:176 ; 4-byte Folded Reload
	buffer_load_dword v3, off, s[40:43], 0 offset:180 ; 4-byte Folded Reload
	;; [unrolled: 1-line block ×4, first 2 shown]
	v_fma_f64 v[22:23], v[8:9], v[62:63], v[22:23]
	v_fma_f64 v[26:27], v[10:11], v[62:63], v[26:27]
	s_waitcnt vmcnt(2)
	v_fma_f64 v[14:15], v[2:3], v[62:63], v[14:15]
	s_waitcnt vmcnt(0)
	v_fma_f64 v[18:19], v[4:5], v[62:63], v[18:19]
	buffer_load_dword v2, off, s[40:43], 0 offset:272 ; 4-byte Folded Reload
	buffer_load_dword v3, off, s[40:43], 0 offset:276 ; 4-byte Folded Reload
	buffer_load_dword v4, off, s[40:43], 0 offset:280 ; 4-byte Folded Reload
	buffer_load_dword v5, off, s[40:43], 0 offset:284 ; 4-byte Folded Reload
	s_waitcnt vmcnt(2)
	v_fma_f64 v[32:33], v[2:3], v[62:63], v[32:33]
	s_waitcnt vmcnt(0)
	v_fma_f64 v[38:39], v[4:5], v[62:63], v[38:39]
	buffer_load_dword v2, off, s[40:43], 0 offset:864 ; 4-byte Folded Reload
	buffer_load_dword v3, off, s[40:43], 0 offset:868 ; 4-byte Folded Reload
	;; [unrolled: 1-line block ×8, first 2 shown]
	s_waitcnt vmcnt(2)
	v_fma_f64 v[0:1], v[34:35], v[2:3], v[0:1]
	s_waitcnt vmcnt(0)
	v_fma_f64 v[6:7], v[36:37], v[2:3], v[6:7]
	buffer_load_dword v34, off, s[40:43], 0 offset:80 ; 4-byte Folded Reload
	buffer_load_dword v35, off, s[40:43], 0 offset:84 ; 4-byte Folded Reload
	buffer_load_dword v36, off, s[40:43], 0 offset:88 ; 4-byte Folded Reload
	buffer_load_dword v37, off, s[40:43], 0 offset:92 ; 4-byte Folded Reload
	s_waitcnt vmcnt(2)
	v_fma_f64 v[14:15], v[34:35], v[2:3], v[14:15]
	s_waitcnt vmcnt(0)
	v_fma_f64 v[18:19], v[36:37], v[2:3], v[18:19]
	buffer_load_dword v34, off, s[40:43], 0 offset:496 ; 4-byte Folded Reload
	buffer_load_dword v35, off, s[40:43], 0 offset:500 ; 4-byte Folded Reload
	buffer_load_dword v36, off, s[40:43], 0 offset:504 ; 4-byte Folded Reload
	buffer_load_dword v37, off, s[40:43], 0 offset:508 ; 4-byte Folded Reload
	;; [unrolled: 8-line block ×8, first 2 shown]
	buffer_load_dword v34, off, s[40:43], 0 offset:336 ; 4-byte Folded Reload
	buffer_load_dword v35, off, s[40:43], 0 offset:340 ; 4-byte Folded Reload
	;; [unrolled: 1-line block ×4, first 2 shown]
	s_waitcnt vmcnt(2)
	v_fma_f64 v[0:1], v[34:35], v[2:3], v[0:1]
	s_waitcnt vmcnt(0)
	v_fma_f64 v[6:7], v[36:37], v[2:3], v[6:7]
	buffer_load_dword v34, off, s[40:43], 0 offset:144 ; 4-byte Folded Reload
	buffer_load_dword v35, off, s[40:43], 0 offset:148 ; 4-byte Folded Reload
	;; [unrolled: 1-line block ×4, first 2 shown]
	s_waitcnt vmcnt(2)
	v_fma_f64 v[14:15], v[34:35], v[2:3], v[14:15]
	s_waitcnt vmcnt(0)
	v_fma_f64 v[18:19], v[36:37], v[2:3], v[18:19]
	buffer_load_dword v34, off, s[40:43], 0 ; 4-byte Folded Reload
	buffer_load_dword v35, off, s[40:43], 0 offset:4 ; 4-byte Folded Reload
	buffer_load_dword v36, off, s[40:43], 0 offset:8 ; 4-byte Folded Reload
	buffer_load_dword v37, off, s[40:43], 0 offset:12 ; 4-byte Folded Reload
	s_waitcnt vmcnt(2)
	v_fma_f64 v[22:23], v[34:35], v[2:3], v[22:23]
	s_waitcnt vmcnt(0)
	v_fma_f64 v[26:27], v[36:37], v[2:3], v[26:27]
	buffer_load_dword v34, off, s[40:43], 0 offset:32 ; 4-byte Folded Reload
	buffer_load_dword v35, off, s[40:43], 0 offset:36 ; 4-byte Folded Reload
	;; [unrolled: 1-line block ×4, first 2 shown]
	v_fma_f64 v[22:23], v[56:57], v[4:5], v[22:23]
	v_fma_f64 v[26:27], v[58:59], v[4:5], v[26:27]
	s_waitcnt vmcnt(2)
	v_fma_f64 v[32:33], v[34:35], v[2:3], v[32:33]
	s_waitcnt vmcnt(0)
	v_fma_f64 v[38:39], v[36:37], v[2:3], v[38:39]
	buffer_load_dword v34, off, s[40:43], 0 offset:384 ; 4-byte Folded Reload
	buffer_load_dword v35, off, s[40:43], 0 offset:388 ; 4-byte Folded Reload
	buffer_load_dword v36, off, s[40:43], 0 offset:392 ; 4-byte Folded Reload
	buffer_load_dword v37, off, s[40:43], 0 offset:396 ; 4-byte Folded Reload
	s_waitcnt vmcnt(2)
	v_fma_f64 v[0:1], v[34:35], v[4:5], v[0:1]
	s_waitcnt vmcnt(0)
	v_fma_f64 v[6:7], v[36:37], v[4:5], v[6:7]
	buffer_load_dword v34, off, s[40:43], 0 offset:224 ; 4-byte Folded Reload
	buffer_load_dword v35, off, s[40:43], 0 offset:228 ; 4-byte Folded Reload
	buffer_load_dword v36, off, s[40:43], 0 offset:232 ; 4-byte Folded Reload
	buffer_load_dword v37, off, s[40:43], 0 offset:236 ; 4-byte Folded Reload
	;; [unrolled: 8-line block ×4, first 2 shown]
	buffer_load_dword v2, off, s[40:43], 0 offset:352 ; 4-byte Folded Reload
	buffer_load_dword v3, off, s[40:43], 0 offset:356 ; 4-byte Folded Reload
	;; [unrolled: 1-line block ×4, first 2 shown]
	s_waitcnt vmcnt(2)
	v_fma_f64 v[0:1], v[2:3], v[34:35], v[0:1]
	s_waitcnt vmcnt(0)
	v_fma_f64 v[6:7], v[4:5], v[34:35], v[6:7]
	buffer_load_dword v2, off, s[40:43], 0 offset:48 ; 4-byte Folded Reload
	buffer_load_dword v3, off, s[40:43], 0 offset:52 ; 4-byte Folded Reload
	;; [unrolled: 1-line block ×4, first 2 shown]
	s_waitcnt vmcnt(2)
	v_fma_f64 v[14:15], v[2:3], v[34:35], v[14:15]
	s_waitcnt vmcnt(0)
	v_fma_f64 v[18:19], v[4:5], v[34:35], v[18:19]
	buffer_load_dword v2, off, s[40:43], 0 offset:16 ; 4-byte Folded Reload
	buffer_load_dword v3, off, s[40:43], 0 offset:20 ; 4-byte Folded Reload
	buffer_load_dword v4, off, s[40:43], 0 offset:24 ; 4-byte Folded Reload
	buffer_load_dword v5, off, s[40:43], 0 offset:28 ; 4-byte Folded Reload
	buffer_load_dword v52, off, s[40:43], 0 offset:160 ; 4-byte Folded Reload
	buffer_load_dword v53, off, s[40:43], 0 offset:164 ; 4-byte Folded Reload
	buffer_load_dword v54, off, s[40:43], 0 offset:168 ; 4-byte Folded Reload
	buffer_load_dword v55, off, s[40:43], 0 offset:172 ; 4-byte Folded Reload
	s_waitcnt vmcnt(6)
	v_fma_f64 v[2:3], v[2:3], v[34:35], v[22:23]
	s_waitcnt vmcnt(4)
	v_fma_f64 v[26:27], v[4:5], v[34:35], v[26:27]
	s_waitcnt vmcnt(2)
	v_fma_f64 v[4:5], v[52:53], v[34:35], v[32:33]
	s_waitcnt vmcnt(0)
	v_fma_f64 v[38:39], v[54:55], v[34:35], v[38:39]
	buffer_load_dword v32, off, s[40:43], 0 offset:192 ; 4-byte Folded Reload
	buffer_load_dword v33, off, s[40:43], 0 offset:196 ; 4-byte Folded Reload
	;; [unrolled: 1-line block ×4, first 2 shown]
	s_waitcnt vmcnt(2)
	v_fma_f64 v[0:1], v[32:33], v[36:37], v[0:1]
	s_waitcnt vmcnt(0)
	v_fma_f64 v[22:23], v[34:35], v[36:37], v[6:7]
	buffer_load_dword v32, off, s[40:43], 0 offset:368 ; 4-byte Folded Reload
	buffer_load_dword v33, off, s[40:43], 0 offset:372 ; 4-byte Folded Reload
	buffer_load_dword v34, off, s[40:43], 0 offset:376 ; 4-byte Folded Reload
	buffer_load_dword v35, off, s[40:43], 0 offset:380 ; 4-byte Folded Reload
	s_waitcnt vmcnt(2)
	v_fma_f64 v[6:7], v[32:33], v[36:37], v[14:15]
	buffer_store_dword v6, off, s[40:43], 0 offset:1320 ; 4-byte Folded Spill
	s_nop 0
	buffer_store_dword v7, off, s[40:43], 0 offset:1324 ; 4-byte Folded Spill
	s_waitcnt vmcnt(2)
	v_fma_f64 v[6:7], v[34:35], v[36:37], v[18:19]
	buffer_store_dword v6, off, s[40:43], 0 offset:1416 ; 4-byte Folded Spill
	s_nop 0
	buffer_store_dword v7, off, s[40:43], 0 offset:1420 ; 4-byte Folded Spill
	buffer_load_dword v56, off, s[40:43], 0 offset:304 ; 4-byte Folded Reload
	buffer_load_dword v57, off, s[40:43], 0 offset:308 ; 4-byte Folded Reload
	buffer_load_dword v58, off, s[40:43], 0 offset:312 ; 4-byte Folded Reload
	buffer_load_dword v59, off, s[40:43], 0 offset:316 ; 4-byte Folded Reload
	s_waitcnt vmcnt(2)
	v_fma_f64 v[2:3], v[56:57], v[36:37], v[2:3]
	buffer_store_dword v2, off, s[40:43], 0 offset:1288 ; 4-byte Folded Spill
	s_nop 0
	buffer_store_dword v3, off, s[40:43], 0 offset:1292 ; 4-byte Folded Spill
	s_waitcnt vmcnt(2)
	v_fma_f64 v[2:3], v[58:59], v[36:37], v[26:27]
	buffer_store_dword v2, off, s[40:43], 0 offset:1112 ; 4-byte Folded Spill
	s_nop 0
	buffer_store_dword v3, off, s[40:43], 0 offset:1116 ; 4-byte Folded Spill
	;; [unrolled: 14-line block ×3, first 2 shown]
	buffer_load_dword v34, off, s[40:43], 0 offset:816 ; 4-byte Folded Reload
	buffer_load_dword v35, off, s[40:43], 0 offset:820 ; 4-byte Folded Reload
	;; [unrolled: 1-line block ×8, first 2 shown]
	s_waitcnt vmcnt(6)
	v_fma_f64 v[2:3], v[28:29], v[34:35], 0
	buffer_load_dword v26, off, s[40:43], 0 offset:176 ; 4-byte Folded Reload
	buffer_load_dword v27, off, s[40:43], 0 offset:180 ; 4-byte Folded Reload
	;; [unrolled: 1-line block ×4, first 2 shown]
	v_fma_f64 v[38:39], v[46:47], v[34:35], 0
	v_fma_f64 v[18:19], v[50:51], v[34:35], 0
	s_waitcnt vmcnt(6)
	v_fma_f64 v[2:3], v[4:5], v[36:37], v[2:3]
	v_fma_f64 v[4:5], v[30:31], v[34:35], 0
	;; [unrolled: 1-line block ×3, first 2 shown]
	s_waitcnt vmcnt(4)
	v_fma_f64 v[4:5], v[6:7], v[36:37], v[4:5]
	v_fma_f64 v[6:7], v[48:49], v[34:35], 0
	s_waitcnt vmcnt(2)
	v_fma_f64 v[6:7], v[26:27], v[36:37], v[6:7]
	v_fma_f64 v[26:27], v[44:45], v[34:35], 0
	s_waitcnt vmcnt(0)
	v_fma_f64 v[18:19], v[28:29], v[36:37], v[18:19]
	v_mov_b32_e32 v28, v40
	v_mov_b32_e32 v29, v41
	v_mov_b32_e32 v30, v42
	v_mov_b32_e32 v31, v43
	v_fma_f64 v[60:61], v[28:29], v[34:35], 0
	v_fma_f64 v[62:63], v[30:31], v[34:35], 0
	;; [unrolled: 1-line block ×3, first 2 shown]
	buffer_load_dword v8, off, s[40:43], 0 offset:272 ; 4-byte Folded Reload
	buffer_load_dword v9, off, s[40:43], 0 offset:276 ; 4-byte Folded Reload
	;; [unrolled: 1-line block ×4, first 2 shown]
	s_waitcnt vmcnt(2)
	v_fma_f64 v[60:61], v[8:9], v[36:37], v[60:61]
	s_waitcnt vmcnt(0)
	v_fma_f64 v[62:63], v[10:11], v[36:37], v[62:63]
	buffer_load_dword v34, off, s[40:43], 0 offset:800 ; 4-byte Folded Reload
	buffer_load_dword v35, off, s[40:43], 0 offset:804 ; 4-byte Folded Reload
	;; [unrolled: 1-line block ×8, first 2 shown]
	s_waitcnt vmcnt(2)
	v_fma_f64 v[2:3], v[8:9], v[34:35], v[2:3]
	s_waitcnt vmcnt(0)
	v_fma_f64 v[4:5], v[10:11], v[34:35], v[4:5]
	buffer_load_dword v8, off, s[40:43], 0 offset:80 ; 4-byte Folded Reload
	buffer_load_dword v9, off, s[40:43], 0 offset:84 ; 4-byte Folded Reload
	buffer_load_dword v10, off, s[40:43], 0 offset:88 ; 4-byte Folded Reload
	buffer_load_dword v11, off, s[40:43], 0 offset:92 ; 4-byte Folded Reload
	s_waitcnt vmcnt(2)
	v_fma_f64 v[6:7], v[8:9], v[34:35], v[6:7]
	s_waitcnt vmcnt(0)
	v_fma_f64 v[18:19], v[10:11], v[34:35], v[18:19]
	buffer_load_dword v8, off, s[40:43], 0 offset:496 ; 4-byte Folded Reload
	buffer_load_dword v9, off, s[40:43], 0 offset:500 ; 4-byte Folded Reload
	buffer_load_dword v10, off, s[40:43], 0 offset:504 ; 4-byte Folded Reload
	buffer_load_dword v11, off, s[40:43], 0 offset:508 ; 4-byte Folded Reload
	;; [unrolled: 8-line block ×6, first 2 shown]
	buffer_load_dword v52, off, s[40:43], 0 offset:112 ; 4-byte Folded Reload
	buffer_load_dword v53, off, s[40:43], 0 offset:116 ; 4-byte Folded Reload
	;; [unrolled: 1-line block ×4, first 2 shown]
	s_waitcnt vmcnt(6)
	v_fma_f64 v[26:27], v[8:9], v[36:37], v[26:27]
	s_waitcnt vmcnt(2)
	v_fma_f64 v[60:61], v[52:53], v[36:37], v[60:61]
	v_fma_f64 v[38:39], v[10:11], v[36:37], v[38:39]
	s_waitcnt vmcnt(0)
	v_fma_f64 v[62:63], v[54:55], v[36:37], v[62:63]
	buffer_load_dword v34, off, s[40:43], 0 offset:784 ; 4-byte Folded Reload
	buffer_load_dword v35, off, s[40:43], 0 offset:788 ; 4-byte Folded Reload
	;; [unrolled: 1-line block ×8, first 2 shown]
	s_waitcnt vmcnt(2)
	v_fma_f64 v[2:3], v[8:9], v[34:35], v[2:3]
	s_waitcnt vmcnt(0)
	v_fma_f64 v[4:5], v[10:11], v[34:35], v[4:5]
	buffer_load_dword v8, off, s[40:43], 0 offset:144 ; 4-byte Folded Reload
	buffer_load_dword v9, off, s[40:43], 0 offset:148 ; 4-byte Folded Reload
	;; [unrolled: 1-line block ×4, first 2 shown]
	s_waitcnt vmcnt(2)
	v_fma_f64 v[6:7], v[8:9], v[34:35], v[6:7]
	s_waitcnt vmcnt(0)
	v_fma_f64 v[18:19], v[10:11], v[34:35], v[18:19]
	buffer_load_dword v8, off, s[40:43], 0  ; 4-byte Folded Reload
	buffer_load_dword v9, off, s[40:43], 0 offset:4 ; 4-byte Folded Reload
	buffer_load_dword v10, off, s[40:43], 0 offset:8 ; 4-byte Folded Reload
	buffer_load_dword v11, off, s[40:43], 0 offset:12 ; 4-byte Folded Reload
	s_waitcnt vmcnt(2)
	v_fma_f64 v[26:27], v[8:9], v[34:35], v[26:27]
	s_waitcnt vmcnt(0)
	v_fma_f64 v[38:39], v[10:11], v[34:35], v[38:39]
	buffer_load_dword v8, off, s[40:43], 0 offset:32 ; 4-byte Folded Reload
	buffer_load_dword v9, off, s[40:43], 0 offset:36 ; 4-byte Folded Reload
	buffer_load_dword v10, off, s[40:43], 0 offset:40 ; 4-byte Folded Reload
	buffer_load_dword v11, off, s[40:43], 0 offset:44 ; 4-byte Folded Reload
	s_waitcnt vmcnt(2)
	v_fma_f64 v[60:61], v[8:9], v[34:35], v[60:61]
	s_waitcnt vmcnt(0)
	v_fma_f64 v[62:63], v[10:11], v[34:35], v[62:63]
	buffer_load_dword v8, off, s[40:43], 0 offset:384 ; 4-byte Folded Reload
	;; [unrolled: 8-line block ×6, first 2 shown]
	buffer_load_dword v35, off, s[40:43], 0 offset:996 ; 4-byte Folded Reload
	buffer_load_dword v36, off, s[40:43], 0 offset:1000 ; 4-byte Folded Reload
	;; [unrolled: 1-line block ×7, first 2 shown]
	s_waitcnt vmcnt(2)
	v_fma_f64 v[2:3], v[8:9], v[34:35], v[2:3]
	s_waitcnt vmcnt(0)
	v_fma_f64 v[4:5], v[10:11], v[34:35], v[4:5]
	buffer_load_dword v8, off, s[40:43], 0 offset:48 ; 4-byte Folded Reload
	buffer_load_dword v9, off, s[40:43], 0 offset:52 ; 4-byte Folded Reload
	buffer_load_dword v10, off, s[40:43], 0 offset:56 ; 4-byte Folded Reload
	buffer_load_dword v11, off, s[40:43], 0 offset:60 ; 4-byte Folded Reload
	s_waitcnt vmcnt(2)
	v_fma_f64 v[6:7], v[8:9], v[34:35], v[6:7]
	s_waitcnt vmcnt(0)
	v_fma_f64 v[18:19], v[10:11], v[34:35], v[18:19]
	buffer_load_dword v8, off, s[40:43], 0 offset:16 ; 4-byte Folded Reload
	buffer_load_dword v9, off, s[40:43], 0 offset:20 ; 4-byte Folded Reload
	buffer_load_dword v10, off, s[40:43], 0 offset:24 ; 4-byte Folded Reload
	buffer_load_dword v11, off, s[40:43], 0 offset:28 ; 4-byte Folded Reload
	s_waitcnt vmcnt(2)
	v_fma_f64 v[26:27], v[8:9], v[34:35], v[26:27]
	s_waitcnt vmcnt(0)
	v_fma_f64 v[38:39], v[10:11], v[34:35], v[38:39]
	buffer_load_dword v8, off, s[40:43], 0 offset:160 ; 4-byte Folded Reload
	buffer_load_dword v9, off, s[40:43], 0 offset:164 ; 4-byte Folded Reload
	buffer_load_dword v10, off, s[40:43], 0 offset:168 ; 4-byte Folded Reload
	buffer_load_dword v11, off, s[40:43], 0 offset:172 ; 4-byte Folded Reload
	s_waitcnt vmcnt(2)
	v_fma_f64 v[60:61], v[8:9], v[34:35], v[60:61]
	s_waitcnt vmcnt(0)
	v_fma_f64 v[62:63], v[10:11], v[34:35], v[62:63]
	buffer_load_dword v8, off, s[40:43], 0 offset:192 ; 4-byte Folded Reload
	buffer_load_dword v9, off, s[40:43], 0 offset:196 ; 4-byte Folded Reload
	buffer_load_dword v10, off, s[40:43], 0 offset:200 ; 4-byte Folded Reload
	buffer_load_dword v11, off, s[40:43], 0 offset:204 ; 4-byte Folded Reload
	s_waitcnt vmcnt(2)
	v_fma_f64 v[42:43], v[8:9], v[36:37], v[2:3]
	s_waitcnt vmcnt(0)
	v_fma_f64 v[8:9], v[10:11], v[36:37], v[4:5]
	buffer_load_dword v2, off, s[40:43], 0 offset:368 ; 4-byte Folded Reload
	buffer_load_dword v3, off, s[40:43], 0 offset:372 ; 4-byte Folded Reload
	buffer_load_dword v4, off, s[40:43], 0 offset:376 ; 4-byte Folded Reload
	buffer_load_dword v5, off, s[40:43], 0 offset:380 ; 4-byte Folded Reload
	s_waitcnt vmcnt(2)
	v_fma_f64 v[6:7], v[2:3], v[36:37], v[6:7]
	v_fma_f64 v[2:3], v[56:57], v[36:37], v[26:27]
	buffer_store_dword v2, off, s[40:43], 0 offset:1408 ; 4-byte Folded Spill
	s_nop 0
	buffer_store_dword v3, off, s[40:43], 0 offset:1412 ; 4-byte Folded Spill
	v_fma_f64 v[2:3], v[58:59], v[36:37], v[38:39]
	buffer_store_dword v2, off, s[40:43], 0 offset:1264 ; 4-byte Folded Spill
	s_nop 0
	buffer_store_dword v3, off, s[40:43], 0 offset:1268 ; 4-byte Folded Spill
	;; [unrolled: 4-line block ×4, first 2 shown]
	s_waitcnt vmcnt(8)
	v_fma_f64 v[18:19], v[4:5], v[36:37], v[18:19]
	buffer_load_dword v2, off, s[40:43], 0 offset:400 ; 4-byte Folded Reload
	buffer_load_dword v3, off, s[40:43], 0 offset:404 ; 4-byte Folded Reload
	;; [unrolled: 1-line block ×10, first 2 shown]
	v_mov_b32_e32 v57, v55
	v_mov_b32_e32 v56, v54
	;; [unrolled: 1-line block ×4, first 2 shown]
	s_waitcnt vmcnt(4)
	v_fma_f64 v[26:27], v[2:3], v[10:11], 0
	v_fma_f64 v[38:39], v[4:5], v[10:11], 0
	;; [unrolled: 1-line block ×8, first 2 shown]
	buffer_load_dword v10, off, s[40:43], 0 offset:1144 ; 4-byte Folded Reload
	buffer_load_dword v11, off, s[40:43], 0 offset:1148 ; 4-byte Folded Reload
	;; [unrolled: 1-line block ×6, first 2 shown]
	s_waitcnt vmcnt(4)
	v_fma_f64 v[4:5], v[12:13], v[10:11], v[4:5]
	v_fma_f64 v[2:3], v[14:15], v[10:11], v[2:3]
	s_waitcnt vmcnt(2)
	v_fma_f64 v[26:27], v[28:29], v[10:11], v[26:27]
	s_waitcnt vmcnt(0)
	v_fma_f64 v[38:39], v[30:31], v[10:11], v[38:39]
	buffer_load_dword v30, off, s[40:43], 0 offset:272 ; 4-byte Folded Reload
	buffer_load_dword v31, off, s[40:43], 0 offset:276 ; 4-byte Folded Reload
	;; [unrolled: 1-line block ×8, first 2 shown]
	s_waitcnt vmcnt(6)
	v_fma_f64 v[44:45], v[30:31], v[10:11], v[44:45]
	s_waitcnt vmcnt(2)
	v_fma_f64 v[48:49], v[34:35], v[10:11], v[60:61]
	v_fma_f64 v[40:41], v[32:33], v[10:11], v[46:47]
	s_waitcnt vmcnt(0)
	v_fma_f64 v[50:51], v[36:37], v[10:11], v[62:63]
	v_mov_b32_e32 v63, v37
	v_mov_b32_e32 v62, v36
	;; [unrolled: 1-line block ×4, first 2 shown]
	buffer_load_dword v34, off, s[40:43], 0 offset:96 ; 4-byte Folded Reload
	buffer_load_dword v35, off, s[40:43], 0 offset:100 ; 4-byte Folded Reload
	;; [unrolled: 1-line block ×6, first 2 shown]
	s_waitcnt vmcnt(0)
	v_fma_f64 v[26:27], v[34:35], v[10:11], v[26:27]
	v_fma_f64 v[38:39], v[36:37], v[10:11], v[38:39]
	buffer_load_dword v34, off, s[40:43], 0 offset:80 ; 4-byte Folded Reload
	buffer_load_dword v35, off, s[40:43], 0 offset:84 ; 4-byte Folded Reload
	buffer_load_dword v36, off, s[40:43], 0 offset:88 ; 4-byte Folded Reload
	buffer_load_dword v37, off, s[40:43], 0 offset:92 ; 4-byte Folded Reload
	s_waitcnt vmcnt(2)
	v_fma_f64 v[46:47], v[34:35], v[10:11], v[48:49]
	s_waitcnt vmcnt(0)
	v_fma_f64 v[48:49], v[36:37], v[10:11], v[50:51]
	buffer_load_dword v34, off, s[40:43], 0 offset:496 ; 4-byte Folded Reload
	buffer_load_dword v35, off, s[40:43], 0 offset:500 ; 4-byte Folded Reload
	buffer_load_dword v36, off, s[40:43], 0 offset:504 ; 4-byte Folded Reload
	buffer_load_dword v37, off, s[40:43], 0 offset:508 ; 4-byte Folded Reload
	s_waitcnt vmcnt(2)
	v_fma_f64 v[4:5], v[34:35], v[10:11], v[4:5]
	s_waitcnt vmcnt(0)
	;; [unrolled: 8-line block ×3, first 2 shown]
	v_fma_f64 v[34:35], v[36:37], v[10:11], v[40:41]
	buffer_load_dword v50, off, s[40:43], 0 offset:208 ; 4-byte Folded Reload
	buffer_load_dword v51, off, s[40:43], 0 offset:212 ; 4-byte Folded Reload
	buffer_load_dword v52, off, s[40:43], 0 offset:216 ; 4-byte Folded Reload
	buffer_load_dword v53, off, s[40:43], 0 offset:220 ; 4-byte Folded Reload
	buffer_load_dword v10, off, s[40:43], 0 offset:1328 ; 4-byte Folded Reload
	buffer_load_dword v11, off, s[40:43], 0 offset:1332 ; 4-byte Folded Reload
	s_waitcnt vmcnt(0)
	v_fma_f64 v[26:27], v[50:51], v[10:11], v[26:27]
	v_fma_f64 v[38:39], v[52:53], v[10:11], v[38:39]
	buffer_load_dword v50, off, s[40:43], 0 offset:128 ; 4-byte Folded Reload
	buffer_load_dword v51, off, s[40:43], 0 offset:132 ; 4-byte Folded Reload
	;; [unrolled: 1-line block ×4, first 2 shown]
	v_fma_f64 v[28:29], v[56:57], v[10:11], v[34:35]
	v_fma_f64 v[44:45], v[54:55], v[10:11], v[44:45]
	s_waitcnt vmcnt(2)
	v_fma_f64 v[40:41], v[50:51], v[10:11], v[46:47]
	s_waitcnt vmcnt(0)
	v_fma_f64 v[46:47], v[52:53], v[10:11], v[48:49]
	buffer_load_dword v48, off, s[40:43], 0 offset:64 ; 4-byte Folded Reload
	buffer_load_dword v49, off, s[40:43], 0 offset:68 ; 4-byte Folded Reload
	;; [unrolled: 1-line block ×8, first 2 shown]
	v_mov_b32_e32 v52, v54
	v_mov_b32_e32 v53, v55
	;; [unrolled: 1-line block ×4, first 2 shown]
	s_waitcnt vmcnt(6)
	v_fma_f64 v[4:5], v[48:49], v[10:11], v[4:5]
	s_waitcnt vmcnt(2)
	v_fma_f64 v[26:27], v[34:35], v[20:21], v[26:27]
	v_fma_f64 v[2:3], v[50:51], v[10:11], v[2:3]
	buffer_load_dword v48, off, s[40:43], 0 offset:144 ; 4-byte Folded Reload
	buffer_load_dword v49, off, s[40:43], 0 offset:148 ; 4-byte Folded Reload
	;; [unrolled: 1-line block ×4, first 2 shown]
	s_waitcnt vmcnt(4)
	v_fma_f64 v[34:35], v[36:37], v[20:21], v[38:39]
	s_waitcnt vmcnt(2)
	v_fma_f64 v[38:39], v[48:49], v[20:21], v[40:41]
	;; [unrolled: 2-line block ×3, first 2 shown]
	buffer_load_dword v46, off, s[40:43], 0 ; 4-byte Folded Reload
	buffer_load_dword v47, off, s[40:43], 0 offset:4 ; 4-byte Folded Reload
	buffer_load_dword v48, off, s[40:43], 0 offset:8 ; 4-byte Folded Reload
	buffer_load_dword v49, off, s[40:43], 0 offset:12 ; 4-byte Folded Reload
	s_waitcnt vmcnt(2)
	v_fma_f64 v[4:5], v[46:47], v[20:21], v[4:5]
	s_waitcnt vmcnt(0)
	v_fma_f64 v[2:3], v[48:49], v[20:21], v[2:3]
	buffer_load_dword v46, off, s[40:43], 0 offset:32 ; 4-byte Folded Reload
	buffer_load_dword v47, off, s[40:43], 0 offset:36 ; 4-byte Folded Reload
	buffer_load_dword v48, off, s[40:43], 0 offset:40 ; 4-byte Folded Reload
	buffer_load_dword v49, off, s[40:43], 0 offset:44 ; 4-byte Folded Reload
	s_waitcnt vmcnt(2)
	v_fma_f64 v[44:45], v[46:47], v[20:21], v[44:45]
	s_waitcnt vmcnt(0)
	v_fma_f64 v[20:21], v[48:49], v[20:21], v[28:29]
	buffer_load_dword v46, off, s[40:43], 0 offset:384 ; 4-byte Folded Reload
	;; [unrolled: 8-line block ×3, first 2 shown]
	buffer_load_dword v35, off, s[40:43], 0 offset:228 ; 4-byte Folded Reload
	buffer_load_dword v36, off, s[40:43], 0 offset:232 ; 4-byte Folded Reload
	;; [unrolled: 1-line block ×7, first 2 shown]
	s_waitcnt vmcnt(6)
	v_fma_f64 v[34:35], v[34:35], v[16:17], v[38:39]
	s_waitcnt vmcnt(2)
	v_fma_f64 v[4:5], v[46:47], v[16:17], v[4:5]
	v_fma_f64 v[38:39], v[36:37], v[16:17], v[40:41]
	s_waitcnt vmcnt(0)
	v_fma_f64 v[2:3], v[48:49], v[16:17], v[2:3]
	buffer_load_dword v46, off, s[40:43], 0 offset:288 ; 4-byte Folded Reload
	buffer_load_dword v47, off, s[40:43], 0 offset:292 ; 4-byte Folded Reload
	buffer_load_dword v48, off, s[40:43], 0 offset:296 ; 4-byte Folded Reload
	buffer_load_dword v49, off, s[40:43], 0 offset:300 ; 4-byte Folded Reload
	s_waitcnt vmcnt(2)
	v_fma_f64 v[40:41], v[46:47], v[16:17], v[44:45]
	buffer_load_dword v44, off, s[40:43], 0 offset:352 ; 4-byte Folded Reload
	buffer_load_dword v45, off, s[40:43], 0 offset:356 ; 4-byte Folded Reload
	buffer_load_dword v46, off, s[40:43], 0 offset:360 ; 4-byte Folded Reload
	buffer_load_dword v47, off, s[40:43], 0 offset:364 ; 4-byte Folded Reload
	s_waitcnt vmcnt(4)
	v_fma_f64 v[16:17], v[48:49], v[16:17], v[20:21]
	s_waitcnt vmcnt(2)
	v_fma_f64 v[20:21], v[44:45], v[0:1], v[26:27]
	;; [unrolled: 2-line block ×3, first 2 shown]
	buffer_load_dword v44, off, s[40:43], 0 offset:48 ; 4-byte Folded Reload
	buffer_load_dword v45, off, s[40:43], 0 offset:52 ; 4-byte Folded Reload
	;; [unrolled: 1-line block ×4, first 2 shown]
	s_waitcnt vmcnt(2)
	v_fma_f64 v[28:29], v[44:45], v[0:1], v[34:35]
	s_waitcnt vmcnt(0)
	v_fma_f64 v[34:35], v[46:47], v[0:1], v[38:39]
	buffer_load_dword v36, off, s[40:43], 0 offset:16 ; 4-byte Folded Reload
	buffer_load_dword v37, off, s[40:43], 0 offset:20 ; 4-byte Folded Reload
	;; [unrolled: 1-line block ×8, first 2 shown]
	s_waitcnt vmcnt(6)
	v_fma_f64 v[4:5], v[36:37], v[0:1], v[4:5]
	s_waitcnt vmcnt(4)
	v_fma_f64 v[2:3], v[38:39], v[0:1], v[2:3]
	;; [unrolled: 2-line block ×4, first 2 shown]
	buffer_load_dword v44, off, s[40:43], 0 offset:192 ; 4-byte Folded Reload
	buffer_load_dword v45, off, s[40:43], 0 offset:196 ; 4-byte Folded Reload
	buffer_load_dword v46, off, s[40:43], 0 offset:200 ; 4-byte Folded Reload
	buffer_load_dword v47, off, s[40:43], 0 offset:204 ; 4-byte Folded Reload
	s_waitcnt vmcnt(2)
	v_fma_f64 v[10:11], v[44:45], v[42:43], v[20:21]
	buffer_store_dword v10, off, s[40:43], 0 offset:992 ; 4-byte Folded Spill
	s_nop 0
	buffer_store_dword v11, off, s[40:43], 0 offset:996 ; 4-byte Folded Spill
	s_waitcnt vmcnt(2)
	v_fma_f64 v[10:11], v[46:47], v[42:43], v[26:27]
	buffer_store_dword v10, off, s[40:43], 0 offset:880 ; 4-byte Folded Spill
	s_nop 0
	buffer_store_dword v11, off, s[40:43], 0 offset:884 ; 4-byte Folded Spill
	buffer_load_dword v44, off, s[40:43], 0 offset:368 ; 4-byte Folded Reload
	buffer_load_dword v45, off, s[40:43], 0 offset:372 ; 4-byte Folded Reload
	buffer_load_dword v46, off, s[40:43], 0 offset:376 ; 4-byte Folded Reload
	buffer_load_dword v47, off, s[40:43], 0 offset:380 ; 4-byte Folded Reload
	s_waitcnt vmcnt(2)
	v_fma_f64 v[10:11], v[44:45], v[42:43], v[28:29]
	buffer_store_dword v10, off, s[40:43], 0 offset:864 ; 4-byte Folded Spill
	s_nop 0
	buffer_store_dword v11, off, s[40:43], 0 offset:868 ; 4-byte Folded Spill
	s_waitcnt vmcnt(2)
	v_fma_f64 v[10:11], v[46:47], v[42:43], v[34:35]
	buffer_store_dword v10, off, s[40:43], 0 offset:848 ; 4-byte Folded Spill
	s_nop 0
	buffer_store_dword v11, off, s[40:43], 0 offset:852 ; 4-byte Folded Spill
	;; [unrolled: 14-line block ×3, first 2 shown]
	buffer_load_dword v2, off, s[40:43], 0 offset:256 ; 4-byte Folded Reload
	s_nop 0
	buffer_load_dword v3, off, s[40:43], 0 offset:260 ; 4-byte Folded Reload
	buffer_load_dword v4, off, s[40:43], 0 offset:264 ; 4-byte Folded Reload
	;; [unrolled: 1-line block ×3, first 2 shown]
	s_waitcnt vmcnt(2)
	v_fma_f64 v[10:11], v[2:3], v[42:43], v[38:39]
	buffer_store_dword v10, off, s[40:43], 0 offset:800 ; 4-byte Folded Spill
	s_nop 0
	buffer_store_dword v11, off, s[40:43], 0 offset:804 ; 4-byte Folded Spill
	s_waitcnt vmcnt(2)
	v_fma_f64 v[0:1], v[4:5], v[42:43], v[0:1]
	buffer_store_dword v0, off, s[40:43], 0 offset:784 ; 4-byte Folded Spill
	s_nop 0
	buffer_store_dword v1, off, s[40:43], 0 offset:788 ; 4-byte Folded Spill
	buffer_load_dword v56, off, s[40:43], 0 offset:400 ; 4-byte Folded Reload
	buffer_load_dword v57, off, s[40:43], 0 offset:404 ; 4-byte Folded Reload
	;; [unrolled: 1-line block ×18, first 2 shown]
	s_waitcnt vmcnt(12)
	v_mov_b32_e32 v11, v5
	v_mov_b32_e32 v10, v4
	v_fma_f64 v[0:1], v[56:57], v[4:5], 0
	v_fma_f64 v[2:3], v[58:59], v[4:5], 0
	s_waitcnt vmcnt(10)
	v_fma_f64 v[4:5], v[40:41], v[10:11], 0
	s_waitcnt vmcnt(8)
	;; [unrolled: 2-line block ×6, first 2 shown]
	v_fma_f64 v[34:35], v[50:51], v[10:11], 0
	buffer_load_dword v36, off, s[40:43], 0 offset:320 ; 4-byte Folded Reload
	buffer_load_dword v37, off, s[40:43], 0 offset:324 ; 4-byte Folded Reload
	;; [unrolled: 1-line block ×6, first 2 shown]
	s_waitcnt vmcnt(0)
	v_fma_f64 v[0:1], v[36:37], v[10:11], v[0:1]
	v_fma_f64 v[2:3], v[38:39], v[10:11], v[2:3]
	v_mov_b32_e32 v36, v60
	v_mov_b32_e32 v37, v61
	;; [unrolled: 1-line block ×4, first 2 shown]
	v_fma_f64 v[4:5], v[36:37], v[10:11], v[4:5]
	v_fma_f64 v[16:17], v[38:39], v[10:11], v[16:17]
	;; [unrolled: 1-line block ×6, first 2 shown]
	buffer_load_dword v10, off, s[40:43], 0 offset:96 ; 4-byte Folded Reload
	buffer_load_dword v11, off, s[40:43], 0 offset:100 ; 4-byte Folded Reload
	;; [unrolled: 1-line block ×6, first 2 shown]
	v_mov_b32_e32 v36, v56
	v_mov_b32_e32 v37, v57
	;; [unrolled: 1-line block ×8, first 2 shown]
	s_waitcnt vmcnt(0)
	v_fma_f64 v[0:1], v[10:11], v[14:15], v[0:1]
	v_fma_f64 v[2:3], v[12:13], v[14:15], v[2:3]
	buffer_load_dword v10, off, s[40:43], 0 offset:80 ; 4-byte Folded Reload
	buffer_load_dword v11, off, s[40:43], 0 offset:84 ; 4-byte Folded Reload
	buffer_load_dword v12, off, s[40:43], 0 offset:88 ; 4-byte Folded Reload
	buffer_load_dword v13, off, s[40:43], 0 offset:92 ; 4-byte Folded Reload
	s_waitcnt vmcnt(2)
	v_fma_f64 v[4:5], v[10:11], v[14:15], v[4:5]
	s_waitcnt vmcnt(0)
	v_fma_f64 v[16:17], v[12:13], v[14:15], v[16:17]
	buffer_load_dword v10, off, s[40:43], 0 offset:496 ; 4-byte Folded Reload
	buffer_load_dword v11, off, s[40:43], 0 offset:500 ; 4-byte Folded Reload
	buffer_load_dword v12, off, s[40:43], 0 offset:504 ; 4-byte Folded Reload
	buffer_load_dword v13, off, s[40:43], 0 offset:508 ; 4-byte Folded Reload
	s_waitcnt vmcnt(2)
	v_fma_f64 v[20:21], v[10:11], v[14:15], v[20:21]
	s_waitcnt vmcnt(0)
	;; [unrolled: 8-line block ×3, first 2 shown]
	v_fma_f64 v[34:35], v[12:13], v[14:15], v[34:35]
	buffer_load_dword v10, off, s[40:43], 0 offset:208 ; 4-byte Folded Reload
	buffer_load_dword v11, off, s[40:43], 0 offset:212 ; 4-byte Folded Reload
	buffer_load_dword v12, off, s[40:43], 0 offset:216 ; 4-byte Folded Reload
	buffer_load_dword v13, off, s[40:43], 0 offset:220 ; 4-byte Folded Reload
	buffer_load_dword v30, off, s[40:43], 0 offset:1136 ; 4-byte Folded Reload
	buffer_load_dword v31, off, s[40:43], 0 offset:1140 ; 4-byte Folded Reload
	s_waitcnt vmcnt(0)
	v_fma_f64 v[0:1], v[10:11], v[30:31], v[0:1]
	v_fma_f64 v[2:3], v[12:13], v[30:31], v[2:3]
	buffer_load_dword v10, off, s[40:43], 0 offset:128 ; 4-byte Folded Reload
	buffer_load_dword v11, off, s[40:43], 0 offset:132 ; 4-byte Folded Reload
	;; [unrolled: 1-line block ×4, first 2 shown]
	s_waitcnt vmcnt(2)
	v_fma_f64 v[4:5], v[10:11], v[30:31], v[4:5]
	s_waitcnt vmcnt(0)
	v_fma_f64 v[16:17], v[12:13], v[30:31], v[16:17]
	buffer_load_dword v10, off, s[40:43], 0 offset:64 ; 4-byte Folded Reload
	buffer_load_dword v11, off, s[40:43], 0 offset:68 ; 4-byte Folded Reload
	;; [unrolled: 1-line block ×4, first 2 shown]
	s_waitcnt vmcnt(2)
	v_fma_f64 v[20:21], v[10:11], v[30:31], v[20:21]
	s_waitcnt vmcnt(0)
	v_fma_f64 v[26:27], v[12:13], v[30:31], v[26:27]
	v_mov_b32_e32 v10, v52
	v_mov_b32_e32 v11, v53
	;; [unrolled: 1-line block ×4, first 2 shown]
	v_fma_f64 v[28:29], v[10:11], v[30:31], v[28:29]
	v_fma_f64 v[10:11], v[12:13], v[30:31], v[34:35]
	buffer_load_dword v12, off, s[40:43], 0 offset:336 ; 4-byte Folded Reload
	buffer_load_dword v13, off, s[40:43], 0 offset:340 ; 4-byte Folded Reload
	;; [unrolled: 1-line block ×6, first 2 shown]
	s_waitcnt vmcnt(0)
	v_fma_f64 v[0:1], v[12:13], v[30:31], v[0:1]
	v_fma_f64 v[2:3], v[14:15], v[30:31], v[2:3]
	buffer_load_dword v12, off, s[40:43], 0 offset:144 ; 4-byte Folded Reload
	buffer_load_dword v13, off, s[40:43], 0 offset:148 ; 4-byte Folded Reload
	;; [unrolled: 1-line block ×4, first 2 shown]
	s_waitcnt vmcnt(2)
	v_fma_f64 v[4:5], v[12:13], v[30:31], v[4:5]
	s_waitcnt vmcnt(0)
	v_mov_b32_e32 v35, v15
	v_fma_f64 v[16:17], v[14:15], v[30:31], v[16:17]
	v_mov_b32_e32 v34, v14
	v_mov_b32_e32 v33, v13
	;; [unrolled: 1-line block ×3, first 2 shown]
	buffer_load_dword v12, off, s[40:43], 0 ; 4-byte Folded Reload
	buffer_load_dword v13, off, s[40:43], 0 offset:4 ; 4-byte Folded Reload
	buffer_load_dword v14, off, s[40:43], 0 offset:8 ; 4-byte Folded Reload
	;; [unrolled: 1-line block ×3, first 2 shown]
	s_waitcnt vmcnt(2)
	v_fma_f64 v[20:21], v[12:13], v[30:31], v[20:21]
	s_waitcnt vmcnt(0)
	v_fma_f64 v[26:27], v[14:15], v[30:31], v[26:27]
	buffer_load_dword v12, off, s[40:43], 0 offset:32 ; 4-byte Folded Reload
	buffer_load_dword v13, off, s[40:43], 0 offset:36 ; 4-byte Folded Reload
	;; [unrolled: 1-line block ×4, first 2 shown]
	s_waitcnt vmcnt(2)
	v_fma_f64 v[28:29], v[12:13], v[30:31], v[28:29]
	s_waitcnt vmcnt(0)
	v_mov_b32_e32 v63, v15
	v_fma_f64 v[10:11], v[14:15], v[30:31], v[10:11]
	v_mov_b32_e32 v62, v14
	v_mov_b32_e32 v61, v13
	;; [unrolled: 1-line block ×3, first 2 shown]
	buffer_load_dword v12, off, s[40:43], 0 offset:384 ; 4-byte Folded Reload
	buffer_load_dword v13, off, s[40:43], 0 offset:388 ; 4-byte Folded Reload
	buffer_load_dword v14, off, s[40:43], 0 offset:392 ; 4-byte Folded Reload
	buffer_load_dword v15, off, s[40:43], 0 offset:396 ; 4-byte Folded Reload
	s_waitcnt vmcnt(2)
	v_fma_f64 v[0:1], v[12:13], v[24:25], v[0:1]
	s_waitcnt vmcnt(0)
	v_fma_f64 v[2:3], v[14:15], v[24:25], v[2:3]
	buffer_load_dword v12, off, s[40:43], 0 offset:224 ; 4-byte Folded Reload
	buffer_load_dword v13, off, s[40:43], 0 offset:228 ; 4-byte Folded Reload
	buffer_load_dword v14, off, s[40:43], 0 offset:232 ; 4-byte Folded Reload
	buffer_load_dword v15, off, s[40:43], 0 offset:236 ; 4-byte Folded Reload
	s_waitcnt vmcnt(2)
	v_fma_f64 v[4:5], v[12:13], v[24:25], v[4:5]
	s_waitcnt vmcnt(0)
	v_fma_f64 v[16:17], v[14:15], v[24:25], v[16:17]
	;; [unrolled: 8-line block ×5, first 2 shown]
	buffer_load_dword v12, off, s[40:43], 0 offset:48 ; 4-byte Folded Reload
	buffer_load_dword v13, off, s[40:43], 0 offset:52 ; 4-byte Folded Reload
	buffer_load_dword v14, off, s[40:43], 0 offset:56 ; 4-byte Folded Reload
	buffer_load_dword v15, off, s[40:43], 0 offset:60 ; 4-byte Folded Reload
	s_waitcnt vmcnt(2)
	v_fma_f64 v[4:5], v[12:13], v[22:23], v[4:5]
	s_waitcnt vmcnt(0)
	v_mov_b32_e32 v55, v15
	v_fma_f64 v[16:17], v[14:15], v[22:23], v[16:17]
	v_mov_b32_e32 v54, v14
	v_mov_b32_e32 v53, v13
	;; [unrolled: 1-line block ×3, first 2 shown]
	buffer_load_dword v12, off, s[40:43], 0 offset:16 ; 4-byte Folded Reload
	buffer_load_dword v13, off, s[40:43], 0 offset:20 ; 4-byte Folded Reload
	buffer_load_dword v14, off, s[40:43], 0 offset:24 ; 4-byte Folded Reload
	buffer_load_dword v15, off, s[40:43], 0 offset:28 ; 4-byte Folded Reload
	s_waitcnt vmcnt(2)
	v_fma_f64 v[20:21], v[12:13], v[22:23], v[20:21]
	s_waitcnt vmcnt(0)
	v_fma_f64 v[24:25], v[14:15], v[22:23], v[26:27]
	buffer_load_dword v12, off, s[40:43], 0 offset:160 ; 4-byte Folded Reload
	buffer_load_dword v13, off, s[40:43], 0 offset:164 ; 4-byte Folded Reload
	;; [unrolled: 1-line block ×4, first 2 shown]
	s_waitcnt vmcnt(2)
	v_fma_f64 v[26:27], v[12:13], v[22:23], v[28:29]
	s_waitcnt vmcnt(0)
	v_fma_f64 v[10:11], v[14:15], v[22:23], v[10:11]
	buffer_load_dword v12, off, s[40:43], 0 offset:192 ; 4-byte Folded Reload
	buffer_load_dword v13, off, s[40:43], 0 offset:196 ; 4-byte Folded Reload
	;; [unrolled: 1-line block ×4, first 2 shown]
	s_waitcnt vmcnt(2)
	v_fma_f64 v[0:1], v[12:13], v[8:9], v[0:1]
	buffer_store_dword v0, off, s[40:43], 0 offset:1160 ; 4-byte Folded Spill
	s_nop 0
	buffer_store_dword v1, off, s[40:43], 0 offset:1164 ; 4-byte Folded Spill
	s_waitcnt vmcnt(2)
	v_fma_f64 v[0:1], v[14:15], v[8:9], v[2:3]
	buffer_store_dword v0, off, s[40:43], 0 offset:1152 ; 4-byte Folded Spill
	s_nop 0
	buffer_store_dword v1, off, s[40:43], 0 offset:1156 ; 4-byte Folded Spill
	buffer_load_dword v0, off, s[40:43], 0 offset:368 ; 4-byte Folded Reload
	s_nop 0
	buffer_load_dword v1, off, s[40:43], 0 offset:372 ; 4-byte Folded Reload
	buffer_load_dword v2, off, s[40:43], 0 offset:376 ; 4-byte Folded Reload
	;; [unrolled: 1-line block ×3, first 2 shown]
	s_waitcnt vmcnt(2)
	v_fma_f64 v[4:5], v[0:1], v[8:9], v[4:5]
	buffer_store_dword v4, off, s[40:43], 0 offset:1144 ; 4-byte Folded Spill
	s_nop 0
	buffer_store_dword v5, off, s[40:43], 0 offset:1148 ; 4-byte Folded Spill
	s_waitcnt vmcnt(2)
	v_fma_f64 v[4:5], v[2:3], v[8:9], v[16:17]
	buffer_store_dword v4, off, s[40:43], 0 offset:1136 ; 4-byte Folded Spill
	s_nop 0
	buffer_store_dword v5, off, s[40:43], 0 offset:1140 ; 4-byte Folded Spill
	buffer_load_dword v0, off, s[40:43], 0 offset:304 ; 4-byte Folded Reload
	buffer_load_dword v1, off, s[40:43], 0 offset:308 ; 4-byte Folded Reload
	;; [unrolled: 1-line block ×4, first 2 shown]
	s_waitcnt vmcnt(2)
	v_fma_f64 v[0:1], v[0:1], v[8:9], v[20:21]
	buffer_store_dword v0, off, s[40:43], 0 offset:1128 ; 4-byte Folded Spill
	s_nop 0
	buffer_store_dword v1, off, s[40:43], 0 offset:1132 ; 4-byte Folded Spill
	s_waitcnt vmcnt(2)
	v_fma_f64 v[0:1], v[2:3], v[8:9], v[24:25]
	buffer_store_dword v0, off, s[40:43], 0 offset:1120 ; 4-byte Folded Spill
	s_nop 0
	buffer_store_dword v1, off, s[40:43], 0 offset:1124 ; 4-byte Folded Spill
	buffer_load_dword v0, off, s[40:43], 0 offset:256 ; 4-byte Folded Reload
	s_nop 0
	buffer_load_dword v1, off, s[40:43], 0 offset:260 ; 4-byte Folded Reload
	buffer_load_dword v2, off, s[40:43], 0 offset:264 ; 4-byte Folded Reload
	;; [unrolled: 1-line block ×3, first 2 shown]
	s_waitcnt vmcnt(2)
	v_fma_f64 v[4:5], v[0:1], v[8:9], v[26:27]
	buffer_store_dword v4, off, s[40:43], 0 offset:1088 ; 4-byte Folded Spill
	s_nop 0
	buffer_store_dword v5, off, s[40:43], 0 offset:1092 ; 4-byte Folded Spill
	s_waitcnt vmcnt(2)
	v_fma_f64 v[4:5], v[2:3], v[8:9], v[10:11]
	buffer_store_dword v4, off, s[40:43], 0 offset:1080 ; 4-byte Folded Spill
	s_nop 0
	buffer_store_dword v5, off, s[40:43], 0 offset:1084 ; 4-byte Folded Spill
	buffer_load_dword v12, off, s[40:43], 0 offset:1232 ; 4-byte Folded Reload
	buffer_load_dword v13, off, s[40:43], 0 offset:1236 ; 4-byte Folded Reload
	s_waitcnt vmcnt(0)
	v_fma_f64 v[0:1], v[36:37], v[12:13], 0
	v_fma_f64 v[2:3], v[38:39], v[12:13], 0
	;; [unrolled: 1-line block ×8, first 2 shown]
	buffer_load_dword v12, off, s[40:43], 0 offset:1240 ; 4-byte Folded Reload
	buffer_load_dword v13, off, s[40:43], 0 offset:1244 ; 4-byte Folded Reload
	;; [unrolled: 1-line block ×6, first 2 shown]
	v_mov_b32_e32 v47, v43
	v_mov_b32_e32 v46, v42
	;; [unrolled: 1-line block ×4, first 2 shown]
	s_waitcnt vmcnt(2)
	v_fma_f64 v[0:1], v[24:25], v[12:13], v[0:1]
	s_waitcnt vmcnt(0)
	v_fma_f64 v[2:3], v[26:27], v[12:13], v[2:3]
	buffer_load_dword v24, off, s[40:43], 0 offset:176 ; 4-byte Folded Reload
	buffer_load_dword v25, off, s[40:43], 0 offset:180 ; 4-byte Folded Reload
	buffer_load_dword v26, off, s[40:43], 0 offset:184 ; 4-byte Folded Reload
	buffer_load_dword v27, off, s[40:43], 0 offset:188 ; 4-byte Folded Reload
	s_waitcnt vmcnt(2)
	v_fma_f64 v[4:5], v[24:25], v[12:13], v[4:5]
	s_waitcnt vmcnt(0)
	v_fma_f64 v[8:9], v[26:27], v[12:13], v[8:9]
	buffer_load_dword v24, off, s[40:43], 0 offset:240 ; 4-byte Folded Reload
	buffer_load_dword v25, off, s[40:43], 0 offset:244 ; 4-byte Folded Reload
	buffer_load_dword v26, off, s[40:43], 0 offset:248 ; 4-byte Folded Reload
	buffer_load_dword v27, off, s[40:43], 0 offset:252 ; 4-byte Folded Reload
	;; [unrolled: 8-line block ×4, first 2 shown]
	buffer_load_dword v26, off, s[40:43], 0 offset:104 ; 4-byte Folded Reload
	buffer_load_dword v27, off, s[40:43], 0 offset:108 ; 4-byte Folded Reload
	s_waitcnt vmcnt(2)
	v_fma_f64 v[0:1], v[24:25], v[12:13], v[0:1]
	s_waitcnt vmcnt(0)
	v_fma_f64 v[2:3], v[26:27], v[12:13], v[2:3]
	buffer_load_dword v24, off, s[40:43], 0 offset:80 ; 4-byte Folded Reload
	buffer_load_dword v25, off, s[40:43], 0 offset:84 ; 4-byte Folded Reload
	buffer_load_dword v26, off, s[40:43], 0 offset:88 ; 4-byte Folded Reload
	buffer_load_dword v27, off, s[40:43], 0 offset:92 ; 4-byte Folded Reload
	s_waitcnt vmcnt(2)
	v_fma_f64 v[4:5], v[24:25], v[12:13], v[4:5]
	s_waitcnt vmcnt(0)
	v_fma_f64 v[8:9], v[26:27], v[12:13], v[8:9]
	buffer_load_dword v24, off, s[40:43], 0 offset:496 ; 4-byte Folded Reload
	buffer_load_dword v25, off, s[40:43], 0 offset:500 ; 4-byte Folded Reload
	;; [unrolled: 8-line block ×4, first 2 shown]
	buffer_load_dword v26, off, s[40:43], 0 offset:216 ; 4-byte Folded Reload
	buffer_load_dword v27, off, s[40:43], 0 offset:220 ; 4-byte Folded Reload
	;; [unrolled: 1-line block ×4, first 2 shown]
	s_waitcnt vmcnt(0)
	v_fma_f64 v[0:1], v[24:25], v[12:13], v[0:1]
	v_fma_f64 v[2:3], v[26:27], v[12:13], v[2:3]
	buffer_load_dword v24, off, s[40:43], 0 offset:128 ; 4-byte Folded Reload
	buffer_load_dword v25, off, s[40:43], 0 offset:132 ; 4-byte Folded Reload
	buffer_load_dword v26, off, s[40:43], 0 offset:136 ; 4-byte Folded Reload
	buffer_load_dword v27, off, s[40:43], 0 offset:140 ; 4-byte Folded Reload
	s_waitcnt vmcnt(2)
	v_fma_f64 v[4:5], v[24:25], v[12:13], v[4:5]
	s_waitcnt vmcnt(0)
	v_fma_f64 v[8:9], v[26:27], v[12:13], v[8:9]
	buffer_load_dword v24, off, s[40:43], 0 offset:64 ; 4-byte Folded Reload
	buffer_load_dword v25, off, s[40:43], 0 offset:68 ; 4-byte Folded Reload
	buffer_load_dword v26, off, s[40:43], 0 offset:72 ; 4-byte Folded Reload
	buffer_load_dword v27, off, s[40:43], 0 offset:76 ; 4-byte Folded Reload
	s_waitcnt vmcnt(2)
	v_fma_f64 v[10:11], v[24:25], v[12:13], v[10:11]
	s_waitcnt vmcnt(0)
	;; [unrolled: 8-line block ×3, first 2 shown]
	v_fma_f64 v[22:23], v[26:27], v[12:13], v[22:23]
	buffer_load_dword v24, off, s[40:43], 0 offset:1304 ; 4-byte Folded Reload
	buffer_load_dword v25, off, s[40:43], 0 offset:1308 ; 4-byte Folded Reload
	;; [unrolled: 1-line block ×6, first 2 shown]
	s_waitcnt vmcnt(4)
	v_fma_f64 v[4:5], v[32:33], v[24:25], v[4:5]
	v_fma_f64 v[8:9], v[34:35], v[24:25], v[8:9]
	s_waitcnt vmcnt(2)
	v_fma_f64 v[0:1], v[12:13], v[24:25], v[0:1]
	v_fma_f64 v[20:21], v[60:61], v[24:25], v[20:21]
	s_waitcnt vmcnt(0)
	v_fma_f64 v[2:3], v[14:15], v[24:25], v[2:3]
	buffer_load_dword v12, off, s[40:43], 0 ; 4-byte Folded Reload
	buffer_load_dword v13, off, s[40:43], 0 offset:4 ; 4-byte Folded Reload
	buffer_load_dword v14, off, s[40:43], 0 offset:8 ; 4-byte Folded Reload
	;; [unrolled: 1-line block ×3, first 2 shown]
	s_waitcnt vmcnt(2)
	v_fma_f64 v[10:11], v[12:13], v[24:25], v[10:11]
	v_fma_f64 v[12:13], v[62:63], v[24:25], v[22:23]
	s_waitcnt vmcnt(0)
	v_fma_f64 v[16:17], v[14:15], v[24:25], v[16:17]
	buffer_load_dword v22, off, s[40:43], 0 offset:384 ; 4-byte Folded Reload
	buffer_load_dword v23, off, s[40:43], 0 offset:388 ; 4-byte Folded Reload
	;; [unrolled: 1-line block ×6, first 2 shown]
	v_mov_b32_e32 v63, v59
	v_mov_b32_e32 v62, v58
	;; [unrolled: 1-line block ×4, first 2 shown]
	s_waitcnt vmcnt(0)
	v_fma_f64 v[0:1], v[22:23], v[14:15], v[0:1]
	v_fma_f64 v[2:3], v[24:25], v[14:15], v[2:3]
	buffer_load_dword v22, off, s[40:43], 0 offset:224 ; 4-byte Folded Reload
	buffer_load_dword v23, off, s[40:43], 0 offset:228 ; 4-byte Folded Reload
	buffer_load_dword v24, off, s[40:43], 0 offset:232 ; 4-byte Folded Reload
	buffer_load_dword v25, off, s[40:43], 0 offset:236 ; 4-byte Folded Reload
	s_waitcnt vmcnt(2)
	v_fma_f64 v[4:5], v[22:23], v[14:15], v[4:5]
	s_waitcnt vmcnt(0)
	v_fma_f64 v[8:9], v[24:25], v[14:15], v[8:9]
	buffer_load_dword v22, off, s[40:43], 0 offset:448 ; 4-byte Folded Reload
	buffer_load_dword v23, off, s[40:43], 0 offset:452 ; 4-byte Folded Reload
	buffer_load_dword v24, off, s[40:43], 0 offset:456 ; 4-byte Folded Reload
	buffer_load_dword v25, off, s[40:43], 0 offset:460 ; 4-byte Folded Reload
	s_waitcnt vmcnt(2)
	v_fma_f64 v[10:11], v[22:23], v[14:15], v[10:11]
	s_waitcnt vmcnt(0)
	;; [unrolled: 8-line block ×3, first 2 shown]
	v_fma_f64 v[12:13], v[24:25], v[14:15], v[12:13]
	buffer_load_dword v24, off, s[40:43], 0 offset:352 ; 4-byte Folded Reload
	buffer_load_dword v25, off, s[40:43], 0 offset:356 ; 4-byte Folded Reload
	buffer_load_dword v26, off, s[40:43], 0 offset:360 ; 4-byte Folded Reload
	buffer_load_dword v27, off, s[40:43], 0 offset:364 ; 4-byte Folded Reload
	buffer_load_dword v14, off, s[40:43], 0 offset:1320 ; 4-byte Folded Reload
	buffer_load_dword v15, off, s[40:43], 0 offset:1324 ; 4-byte Folded Reload
	s_waitcnt vmcnt(2)
	v_mov_b32_e32 v33, v27
	v_mov_b32_e32 v32, v26
	s_waitcnt vmcnt(0)
	v_fma_f64 v[0:1], v[24:25], v[14:15], v[0:1]
	v_fma_f64 v[22:23], v[26:27], v[14:15], v[2:3]
	v_mov_b32_e32 v31, v25
	v_mov_b32_e32 v30, v24
	buffer_load_dword v24, off, s[40:43], 0 offset:16 ; 4-byte Folded Reload
	buffer_load_dword v25, off, s[40:43], 0 offset:20 ; 4-byte Folded Reload
	;; [unrolled: 1-line block ×4, first 2 shown]
	v_fma_f64 v[4:5], v[52:53], v[14:15], v[4:5]
	v_fma_f64 v[8:9], v[54:55], v[14:15], v[8:9]
	s_waitcnt vmcnt(2)
	v_fma_f64 v[10:11], v[24:25], v[14:15], v[10:11]
	s_waitcnt vmcnt(0)
	v_fma_f64 v[16:17], v[26:27], v[14:15], v[16:17]
	buffer_load_dword v24, off, s[40:43], 0 offset:160 ; 4-byte Folded Reload
	buffer_load_dword v25, off, s[40:43], 0 offset:164 ; 4-byte Folded Reload
	;; [unrolled: 1-line block ×4, first 2 shown]
	s_waitcnt vmcnt(2)
	v_fma_f64 v[20:21], v[24:25], v[14:15], v[20:21]
	s_waitcnt vmcnt(0)
	v_fma_f64 v[12:13], v[26:27], v[14:15], v[12:13]
	buffer_load_dword v24, off, s[40:43], 0 offset:192 ; 4-byte Folded Reload
	buffer_load_dword v25, off, s[40:43], 0 offset:196 ; 4-byte Folded Reload
	;; [unrolled: 1-line block ×4, first 2 shown]
	s_waitcnt vmcnt(2)
	v_fma_f64 v[0:1], v[24:25], v[6:7], v[0:1]
	buffer_store_dword v0, off, s[40:43], 0 offset:1328 ; 4-byte Folded Spill
	s_nop 0
	buffer_store_dword v1, off, s[40:43], 0 offset:1332 ; 4-byte Folded Spill
	s_waitcnt vmcnt(2)
	v_fma_f64 v[0:1], v[26:27], v[6:7], v[22:23]
	buffer_store_dword v0, off, s[40:43], 0 offset:1320 ; 4-byte Folded Spill
	s_nop 0
	buffer_store_dword v1, off, s[40:43], 0 offset:1324 ; 4-byte Folded Spill
	buffer_load_dword v0, off, s[40:43], 0 offset:368 ; 4-byte Folded Reload
	s_nop 0
	buffer_load_dword v1, off, s[40:43], 0 offset:372 ; 4-byte Folded Reload
	buffer_load_dword v2, off, s[40:43], 0 offset:376 ; 4-byte Folded Reload
	buffer_load_dword v3, off, s[40:43], 0 offset:380 ; 4-byte Folded Reload
	s_waitcnt vmcnt(2)
	v_fma_f64 v[0:1], v[0:1], v[6:7], v[4:5]
	buffer_store_dword v0, off, s[40:43], 0 offset:1312 ; 4-byte Folded Spill
	s_nop 0
	buffer_store_dword v1, off, s[40:43], 0 offset:1316 ; 4-byte Folded Spill
	s_waitcnt vmcnt(2)
	v_fma_f64 v[0:1], v[2:3], v[6:7], v[8:9]
	buffer_store_dword v0, off, s[40:43], 0 offset:1304 ; 4-byte Folded Spill
	s_nop 0
	buffer_store_dword v1, off, s[40:43], 0 offset:1308 ; 4-byte Folded Spill
	buffer_load_dword v0, off, s[40:43], 0 offset:304 ; 4-byte Folded Reload
	s_nop 0
	buffer_load_dword v1, off, s[40:43], 0 offset:308 ; 4-byte Folded Reload
	buffer_load_dword v2, off, s[40:43], 0 offset:312 ; 4-byte Folded Reload
	buffer_load_dword v3, off, s[40:43], 0 offset:316 ; 4-byte Folded Reload
	;; [unrolled: 15-line block ×3, first 2 shown]
	s_waitcnt vmcnt(2)
	v_fma_f64 v[4:5], v[0:1], v[6:7], v[20:21]
	buffer_store_dword v4, off, s[40:43], 0 offset:1240 ; 4-byte Folded Spill
	s_nop 0
	buffer_store_dword v5, off, s[40:43], 0 offset:1244 ; 4-byte Folded Spill
	s_waitcnt vmcnt(2)
	v_fma_f64 v[4:5], v[2:3], v[6:7], v[12:13]
	buffer_store_dword v4, off, s[40:43], 0 offset:1232 ; 4-byte Folded Spill
	s_nop 0
	buffer_store_dword v5, off, s[40:43], 0 offset:1236 ; 4-byte Folded Spill
	buffer_load_dword v2, off, s[40:43], 0 offset:1040 ; 4-byte Folded Reload
	buffer_load_dword v3, off, s[40:43], 0 offset:1044 ; 4-byte Folded Reload
	;; [unrolled: 1-line block ×6, first 2 shown]
	s_waitcnt vmcnt(4)
	v_fma_f64 v[0:1], v[36:37], v[2:3], 0
	v_fma_f64 v[4:5], v[38:39], v[2:3], 0
	;; [unrolled: 1-line block ×4, first 2 shown]
	s_waitcnt vmcnt(2)
	v_fma_f64 v[10:11], v[48:49], v[2:3], 0
	s_waitcnt vmcnt(0)
	v_fma_f64 v[12:13], v[50:51], v[2:3], 0
	v_fma_f64 v[16:17], v[60:61], v[2:3], 0
	;; [unrolled: 1-line block ×3, first 2 shown]
	buffer_load_dword v2, off, s[40:43], 0 offset:1048 ; 4-byte Folded Reload
	buffer_load_dword v3, off, s[40:43], 0 offset:1052 ; 4-byte Folded Reload
	;; [unrolled: 1-line block ×6, first 2 shown]
	s_waitcnt vmcnt(2)
	v_fma_f64 v[0:1], v[22:23], v[2:3], v[0:1]
	s_waitcnt vmcnt(0)
	v_fma_f64 v[4:5], v[24:25], v[2:3], v[4:5]
	buffer_load_dword v22, off, s[40:43], 0 offset:176 ; 4-byte Folded Reload
	buffer_load_dword v23, off, s[40:43], 0 offset:180 ; 4-byte Folded Reload
	buffer_load_dword v24, off, s[40:43], 0 offset:184 ; 4-byte Folded Reload
	buffer_load_dword v25, off, s[40:43], 0 offset:188 ; 4-byte Folded Reload
	s_waitcnt vmcnt(2)
	v_fma_f64 v[6:7], v[22:23], v[2:3], v[6:7]
	s_waitcnt vmcnt(0)
	v_fma_f64 v[8:9], v[24:25], v[2:3], v[8:9]
	buffer_load_dword v22, off, s[40:43], 0 offset:240 ; 4-byte Folded Reload
	buffer_load_dword v23, off, s[40:43], 0 offset:244 ; 4-byte Folded Reload
	buffer_load_dword v24, off, s[40:43], 0 offset:248 ; 4-byte Folded Reload
	buffer_load_dword v25, off, s[40:43], 0 offset:252 ; 4-byte Folded Reload
	;; [unrolled: 8-line block ×4, first 2 shown]
	buffer_load_dword v24, off, s[40:43], 0 offset:104 ; 4-byte Folded Reload
	buffer_load_dword v25, off, s[40:43], 0 offset:108 ; 4-byte Folded Reload
	;; [unrolled: 1-line block ×6, first 2 shown]
	s_waitcnt vmcnt(6)
	v_fma_f64 v[0:1], v[22:23], v[2:3], v[0:1]
	s_waitcnt vmcnt(2)
	v_fma_f64 v[6:7], v[40:41], v[2:3], v[6:7]
	v_fma_f64 v[4:5], v[24:25], v[2:3], v[4:5]
	buffer_load_dword v22, off, s[40:43], 0 offset:496 ; 4-byte Folded Reload
	buffer_load_dword v23, off, s[40:43], 0 offset:500 ; 4-byte Folded Reload
	;; [unrolled: 1-line block ×8, first 2 shown]
	s_waitcnt vmcnt(8)
	v_fma_f64 v[8:9], v[42:43], v[2:3], v[8:9]
	s_waitcnt vmcnt(6)
	v_fma_f64 v[10:11], v[22:23], v[2:3], v[10:11]
	s_waitcnt vmcnt(2)
	v_fma_f64 v[16:17], v[56:57], v[2:3], v[16:17]
	v_fma_f64 v[12:13], v[24:25], v[2:3], v[12:13]
	s_waitcnt vmcnt(0)
	v_fma_f64 v[20:21], v[58:59], v[2:3], v[20:21]
	buffer_load_dword v2, off, s[40:43], 0 offset:1248 ; 4-byte Folded Reload
	buffer_load_dword v3, off, s[40:43], 0 offset:1252 ; 4-byte Folded Reload
	;; [unrolled: 1-line block ×6, first 2 shown]
	s_waitcnt vmcnt(2)
	v_fma_f64 v[0:1], v[22:23], v[2:3], v[0:1]
	s_waitcnt vmcnt(0)
	v_fma_f64 v[4:5], v[24:25], v[2:3], v[4:5]
	buffer_load_dword v22, off, s[40:43], 0 offset:128 ; 4-byte Folded Reload
	buffer_load_dword v23, off, s[40:43], 0 offset:132 ; 4-byte Folded Reload
	buffer_load_dword v24, off, s[40:43], 0 offset:136 ; 4-byte Folded Reload
	buffer_load_dword v25, off, s[40:43], 0 offset:140 ; 4-byte Folded Reload
	s_waitcnt vmcnt(2)
	v_fma_f64 v[6:7], v[22:23], v[2:3], v[6:7]
	s_waitcnt vmcnt(0)
	v_fma_f64 v[8:9], v[24:25], v[2:3], v[8:9]
	buffer_load_dword v22, off, s[40:43], 0 offset:64 ; 4-byte Folded Reload
	buffer_load_dword v23, off, s[40:43], 0 offset:68 ; 4-byte Folded Reload
	buffer_load_dword v24, off, s[40:43], 0 offset:72 ; 4-byte Folded Reload
	buffer_load_dword v25, off, s[40:43], 0 offset:76 ; 4-byte Folded Reload
	;; [unrolled: 8-line block ×3, first 2 shown]
	s_waitcnt vmcnt(2)
	v_fma_f64 v[16:17], v[22:23], v[2:3], v[16:17]
	s_waitcnt vmcnt(0)
	v_mov_b32_e32 v55, v25
	v_fma_f64 v[20:21], v[24:25], v[2:3], v[20:21]
	v_mov_b32_e32 v54, v24
	v_mov_b32_e32 v53, v23
	;; [unrolled: 1-line block ×3, first 2 shown]
	buffer_load_dword v22, off, s[40:43], 0 offset:336 ; 4-byte Folded Reload
	buffer_load_dword v23, off, s[40:43], 0 offset:340 ; 4-byte Folded Reload
	;; [unrolled: 1-line block ×6, first 2 shown]
	s_waitcnt vmcnt(0)
	v_fma_f64 v[0:1], v[22:23], v[2:3], v[0:1]
	v_fma_f64 v[4:5], v[24:25], v[2:3], v[4:5]
	buffer_load_dword v22, off, s[40:43], 0 offset:144 ; 4-byte Folded Reload
	buffer_load_dword v23, off, s[40:43], 0 offset:148 ; 4-byte Folded Reload
	;; [unrolled: 1-line block ×4, first 2 shown]
	s_waitcnt vmcnt(2)
	v_fma_f64 v[6:7], v[22:23], v[2:3], v[6:7]
	s_waitcnt vmcnt(0)
	v_fma_f64 v[8:9], v[24:25], v[2:3], v[8:9]
	buffer_load_dword v22, off, s[40:43], 0 ; 4-byte Folded Reload
	buffer_load_dword v23, off, s[40:43], 0 offset:4 ; 4-byte Folded Reload
	buffer_load_dword v24, off, s[40:43], 0 offset:8 ; 4-byte Folded Reload
	;; [unrolled: 1-line block ×3, first 2 shown]
	s_waitcnt vmcnt(2)
	v_fma_f64 v[10:11], v[22:23], v[2:3], v[10:11]
	s_waitcnt vmcnt(0)
	v_fma_f64 v[12:13], v[24:25], v[2:3], v[12:13]
	buffer_load_dword v22, off, s[40:43], 0 offset:32 ; 4-byte Folded Reload
	buffer_load_dword v23, off, s[40:43], 0 offset:36 ; 4-byte Folded Reload
	;; [unrolled: 1-line block ×4, first 2 shown]
	s_waitcnt vmcnt(2)
	v_fma_f64 v[16:17], v[22:23], v[2:3], v[16:17]
	s_waitcnt vmcnt(0)
	v_fma_f64 v[20:21], v[24:25], v[2:3], v[20:21]
	buffer_load_dword v2, off, s[40:43], 0 offset:1336 ; 4-byte Folded Reload
	buffer_load_dword v3, off, s[40:43], 0 offset:1340 ; 4-byte Folded Reload
	;; [unrolled: 1-line block ×6, first 2 shown]
	s_waitcnt vmcnt(2)
	v_fma_f64 v[0:1], v[22:23], v[2:3], v[0:1]
	s_waitcnt vmcnt(0)
	v_fma_f64 v[4:5], v[24:25], v[2:3], v[4:5]
	buffer_load_dword v22, off, s[40:43], 0 offset:224 ; 4-byte Folded Reload
	buffer_load_dword v23, off, s[40:43], 0 offset:228 ; 4-byte Folded Reload
	buffer_load_dword v24, off, s[40:43], 0 offset:232 ; 4-byte Folded Reload
	buffer_load_dword v25, off, s[40:43], 0 offset:236 ; 4-byte Folded Reload
	s_waitcnt vmcnt(2)
	v_fma_f64 v[6:7], v[22:23], v[2:3], v[6:7]
	s_waitcnt vmcnt(0)
	v_fma_f64 v[8:9], v[24:25], v[2:3], v[8:9]
	buffer_load_dword v22, off, s[40:43], 0 offset:448 ; 4-byte Folded Reload
	buffer_load_dword v23, off, s[40:43], 0 offset:452 ; 4-byte Folded Reload
	buffer_load_dword v24, off, s[40:43], 0 offset:456 ; 4-byte Folded Reload
	buffer_load_dword v25, off, s[40:43], 0 offset:460 ; 4-byte Folded Reload
	;; [unrolled: 8-line block ×4, first 2 shown]
	buffer_load_dword v24, off, s[40:43], 0 offset:56 ; 4-byte Folded Reload
	buffer_load_dword v25, off, s[40:43], 0 offset:60 ; 4-byte Folded Reload
	s_waitcnt vmcnt(2)
	v_fma_f64 v[6:7], v[22:23], v[2:3], v[6:7]
	s_waitcnt vmcnt(0)
	v_fma_f64 v[8:9], v[24:25], v[2:3], v[8:9]
	buffer_load_dword v22, off, s[40:43], 0 offset:16 ; 4-byte Folded Reload
	buffer_load_dword v23, off, s[40:43], 0 offset:20 ; 4-byte Folded Reload
	;; [unrolled: 1-line block ×4, first 2 shown]
	v_fma_f64 v[0:1], v[30:31], v[2:3], v[0:1]
	v_fma_f64 v[4:5], v[32:33], v[2:3], v[4:5]
	s_waitcnt vmcnt(2)
	v_fma_f64 v[22:23], v[22:23], v[2:3], v[10:11]
	s_waitcnt vmcnt(0)
	v_fma_f64 v[12:13], v[24:25], v[2:3], v[12:13]
	buffer_load_dword v24, off, s[40:43], 0 offset:160 ; 4-byte Folded Reload
	buffer_load_dword v25, off, s[40:43], 0 offset:164 ; 4-byte Folded Reload
	;; [unrolled: 1-line block ×4, first 2 shown]
	s_waitcnt vmcnt(2)
	v_fma_f64 v[16:17], v[24:25], v[2:3], v[16:17]
	s_waitcnt vmcnt(0)
	v_fma_f64 v[14:15], v[26:27], v[2:3], v[20:21]
	buffer_load_dword v24, off, s[40:43], 0 offset:192 ; 4-byte Folded Reload
	buffer_load_dword v25, off, s[40:43], 0 offset:196 ; 4-byte Folded Reload
	;; [unrolled: 1-line block ×4, first 2 shown]
	s_waitcnt vmcnt(2)
	v_fma_f64 v[0:1], v[24:25], v[18:19], v[0:1]
	buffer_store_dword v0, off, s[40:43], 0 offset:1424 ; 4-byte Folded Spill
	s_nop 0
	buffer_store_dword v1, off, s[40:43], 0 offset:1428 ; 4-byte Folded Spill
	s_waitcnt vmcnt(2)
	v_fma_f64 v[0:1], v[26:27], v[18:19], v[4:5]
	buffer_store_dword v0, off, s[40:43], 0 offset:1416 ; 4-byte Folded Spill
	s_nop 0
	buffer_store_dword v1, off, s[40:43], 0 offset:1420 ; 4-byte Folded Spill
	buffer_load_dword v0, off, s[40:43], 0 offset:368 ; 4-byte Folded Reload
	s_nop 0
	buffer_load_dword v1, off, s[40:43], 0 offset:372 ; 4-byte Folded Reload
	buffer_load_dword v2, off, s[40:43], 0 offset:376 ; 4-byte Folded Reload
	buffer_load_dword v3, off, s[40:43], 0 offset:380 ; 4-byte Folded Reload
	s_waitcnt vmcnt(2)
	v_fma_f64 v[4:5], v[0:1], v[18:19], v[6:7]
	buffer_store_dword v4, off, s[40:43], 0 offset:1336 ; 4-byte Folded Spill
	s_nop 0
	buffer_store_dword v5, off, s[40:43], 0 offset:1340 ; 4-byte Folded Spill
	s_waitcnt vmcnt(2)
	v_fma_f64 v[4:5], v[2:3], v[18:19], v[8:9]
	buffer_store_dword v4, off, s[40:43], 0 offset:1272 ; 4-byte Folded Spill
	s_nop 0
	buffer_store_dword v5, off, s[40:43], 0 offset:1276 ; 4-byte Folded Spill
	buffer_load_dword v0, off, s[40:43], 0 offset:304 ; 4-byte Folded Reload
	buffer_load_dword v1, off, s[40:43], 0 offset:308 ; 4-byte Folded Reload
	buffer_load_dword v2, off, s[40:43], 0 offset:312 ; 4-byte Folded Reload
	buffer_load_dword v3, off, s[40:43], 0 offset:316 ; 4-byte Folded Reload
	s_waitcnt vmcnt(2)
	v_fma_f64 v[4:5], v[0:1], v[18:19], v[22:23]
	buffer_store_dword v4, off, s[40:43], 0 offset:1248 ; 4-byte Folded Spill
	s_nop 0
	buffer_store_dword v5, off, s[40:43], 0 offset:1252 ; 4-byte Folded Spill
	s_waitcnt vmcnt(2)
	v_fma_f64 v[4:5], v[2:3], v[18:19], v[12:13]
	buffer_store_dword v4, off, s[40:43], 0 offset:1096 ; 4-byte Folded Spill
	s_nop 0
	buffer_store_dword v5, off, s[40:43], 0 offset:1100 ; 4-byte Folded Spill
	buffer_load_dword v0, off, s[40:43], 0 offset:256 ; 4-byte Folded Reload
	;; [unrolled: 14-line block ×3, first 2 shown]
	s_nop 0
	buffer_load_dword v5, off, s[40:43], 0 offset:1012 ; 4-byte Folded Reload
	v_mov_b32_e32 v29, v3
	v_mov_b32_e32 v28, v2
	;; [unrolled: 1-line block ×4, first 2 shown]
	s_waitcnt vmcnt(0)
	v_fma_f64 v[0:1], v[36:37], v[4:5], 0
	v_fma_f64 v[6:7], v[38:39], v[4:5], 0
	;; [unrolled: 1-line block ×8, first 2 shown]
	buffer_load_dword v4, off, s[40:43], 0 offset:944 ; 4-byte Folded Reload
	buffer_load_dword v5, off, s[40:43], 0 offset:948 ; 4-byte Folded Reload
	;; [unrolled: 1-line block ×6, first 2 shown]
	s_waitcnt vmcnt(2)
	v_fma_f64 v[0:1], v[22:23], v[4:5], v[0:1]
	s_waitcnt vmcnt(0)
	v_fma_f64 v[6:7], v[24:25], v[4:5], v[6:7]
	buffer_load_dword v22, off, s[40:43], 0 offset:176 ; 4-byte Folded Reload
	buffer_load_dword v23, off, s[40:43], 0 offset:180 ; 4-byte Folded Reload
	buffer_load_dword v24, off, s[40:43], 0 offset:184 ; 4-byte Folded Reload
	buffer_load_dword v25, off, s[40:43], 0 offset:188 ; 4-byte Folded Reload
	s_waitcnt vmcnt(2)
	v_fma_f64 v[8:9], v[22:23], v[4:5], v[8:9]
	s_waitcnt vmcnt(0)
	v_fma_f64 v[12:13], v[24:25], v[4:5], v[12:13]
	buffer_load_dword v22, off, s[40:43], 0 offset:240 ; 4-byte Folded Reload
	buffer_load_dword v23, off, s[40:43], 0 offset:244 ; 4-byte Folded Reload
	buffer_load_dword v24, off, s[40:43], 0 offset:248 ; 4-byte Folded Reload
	buffer_load_dword v25, off, s[40:43], 0 offset:252 ; 4-byte Folded Reload
	;; [unrolled: 8-line block ×4, first 2 shown]
	buffer_load_dword v24, off, s[40:43], 0 offset:104 ; 4-byte Folded Reload
	buffer_load_dword v25, off, s[40:43], 0 offset:108 ; 4-byte Folded Reload
	s_waitcnt vmcnt(4)
	v_fma_f64 v[8:9], v[40:41], v[4:5], v[8:9]
	v_fma_f64 v[12:13], v[42:43], v[4:5], v[12:13]
	s_waitcnt vmcnt(2)
	v_fma_f64 v[0:1], v[22:23], v[4:5], v[0:1]
	v_fma_f64 v[18:19], v[56:57], v[4:5], v[18:19]
	s_waitcnt vmcnt(0)
	v_fma_f64 v[6:7], v[24:25], v[4:5], v[6:7]
	buffer_load_dword v22, off, s[40:43], 0 offset:496 ; 4-byte Folded Reload
	buffer_load_dword v23, off, s[40:43], 0 offset:500 ; 4-byte Folded Reload
	;; [unrolled: 1-line block ×4, first 2 shown]
	v_fma_f64 v[20:21], v[58:59], v[4:5], v[20:21]
	s_waitcnt vmcnt(2)
	v_fma_f64 v[14:15], v[22:23], v[4:5], v[14:15]
	s_waitcnt vmcnt(0)
	v_fma_f64 v[16:17], v[24:25], v[4:5], v[16:17]
	buffer_load_dword v4, off, s[40:43], 0 offset:1056 ; 4-byte Folded Reload
	buffer_load_dword v5, off, s[40:43], 0 offset:1060 ; 4-byte Folded Reload
	buffer_load_dword v22, off, s[40:43], 0 offset:208 ; 4-byte Folded Reload
	buffer_load_dword v23, off, s[40:43], 0 offset:212 ; 4-byte Folded Reload
	buffer_load_dword v24, off, s[40:43], 0 offset:216 ; 4-byte Folded Reload
	buffer_load_dword v25, off, s[40:43], 0 offset:220 ; 4-byte Folded Reload
	s_waitcnt vmcnt(4)
	v_fma_f64 v[18:19], v[52:53], v[4:5], v[18:19]
	v_fma_f64 v[20:21], v[54:55], v[4:5], v[20:21]
	s_waitcnt vmcnt(2)
	v_fma_f64 v[0:1], v[22:23], v[4:5], v[0:1]
	s_waitcnt vmcnt(0)
	v_fma_f64 v[6:7], v[24:25], v[4:5], v[6:7]
	buffer_load_dword v22, off, s[40:43], 0 offset:128 ; 4-byte Folded Reload
	buffer_load_dword v23, off, s[40:43], 0 offset:132 ; 4-byte Folded Reload
	;; [unrolled: 1-line block ×4, first 2 shown]
	s_waitcnt vmcnt(2)
	v_fma_f64 v[8:9], v[22:23], v[4:5], v[8:9]
	s_waitcnt vmcnt(0)
	v_fma_f64 v[12:13], v[24:25], v[4:5], v[12:13]
	buffer_load_dword v22, off, s[40:43], 0 offset:64 ; 4-byte Folded Reload
	buffer_load_dword v23, off, s[40:43], 0 offset:68 ; 4-byte Folded Reload
	;; [unrolled: 1-line block ×4, first 2 shown]
	s_waitcnt vmcnt(2)
	v_fma_f64 v[14:15], v[22:23], v[4:5], v[14:15]
	s_waitcnt vmcnt(0)
	v_mov_b32_e32 v59, v25
	v_fma_f64 v[16:17], v[24:25], v[4:5], v[16:17]
	v_mov_b32_e32 v58, v24
	v_mov_b32_e32 v57, v23
	;; [unrolled: 1-line block ×3, first 2 shown]
	buffer_load_dword v4, off, s[40:43], 0 offset:1104 ; 4-byte Folded Reload
	buffer_load_dword v5, off, s[40:43], 0 offset:1108 ; 4-byte Folded Reload
	;; [unrolled: 1-line block ×6, first 2 shown]
	v_mov_b32_e32 v52, v56
	v_mov_b32_e32 v53, v57
	;; [unrolled: 1-line block ×4, first 2 shown]
	s_waitcnt vmcnt(2)
	v_fma_f64 v[0:1], v[22:23], v[4:5], v[0:1]
	s_waitcnt vmcnt(0)
	v_fma_f64 v[6:7], v[24:25], v[4:5], v[6:7]
	buffer_load_dword v22, off, s[40:43], 0 offset:144 ; 4-byte Folded Reload
	buffer_load_dword v23, off, s[40:43], 0 offset:148 ; 4-byte Folded Reload
	;; [unrolled: 1-line block ×4, first 2 shown]
	s_waitcnt vmcnt(2)
	v_fma_f64 v[8:9], v[22:23], v[4:5], v[8:9]
	s_waitcnt vmcnt(0)
	v_fma_f64 v[12:13], v[24:25], v[4:5], v[12:13]
	buffer_load_dword v22, off, s[40:43], 0 ; 4-byte Folded Reload
	buffer_load_dword v23, off, s[40:43], 0 offset:4 ; 4-byte Folded Reload
	buffer_load_dword v24, off, s[40:43], 0 offset:8 ; 4-byte Folded Reload
	;; [unrolled: 1-line block ×3, first 2 shown]
	s_waitcnt vmcnt(2)
	v_fma_f64 v[14:15], v[22:23], v[4:5], v[14:15]
	s_waitcnt vmcnt(0)
	v_fma_f64 v[16:17], v[24:25], v[4:5], v[16:17]
	buffer_load_dword v22, off, s[40:43], 0 offset:32 ; 4-byte Folded Reload
	buffer_load_dword v23, off, s[40:43], 0 offset:36 ; 4-byte Folded Reload
	;; [unrolled: 1-line block ×4, first 2 shown]
	s_waitcnt vmcnt(2)
	v_fma_f64 v[18:19], v[22:23], v[4:5], v[18:19]
	s_waitcnt vmcnt(0)
	v_fma_f64 v[20:21], v[24:25], v[4:5], v[20:21]
	buffer_load_dword v4, off, s[40:43], 0 offset:1256 ; 4-byte Folded Reload
	buffer_load_dword v5, off, s[40:43], 0 offset:1260 ; 4-byte Folded Reload
	;; [unrolled: 1-line block ×6, first 2 shown]
	s_waitcnt vmcnt(2)
	v_fma_f64 v[0:1], v[22:23], v[4:5], v[0:1]
	s_waitcnt vmcnt(0)
	v_fma_f64 v[6:7], v[24:25], v[4:5], v[6:7]
	buffer_load_dword v22, off, s[40:43], 0 offset:224 ; 4-byte Folded Reload
	buffer_load_dword v23, off, s[40:43], 0 offset:228 ; 4-byte Folded Reload
	buffer_load_dword v24, off, s[40:43], 0 offset:232 ; 4-byte Folded Reload
	buffer_load_dword v25, off, s[40:43], 0 offset:236 ; 4-byte Folded Reload
	s_waitcnt vmcnt(2)
	v_fma_f64 v[8:9], v[22:23], v[4:5], v[8:9]
	s_waitcnt vmcnt(0)
	v_fma_f64 v[12:13], v[24:25], v[4:5], v[12:13]
	buffer_load_dword v22, off, s[40:43], 0 offset:448 ; 4-byte Folded Reload
	buffer_load_dword v23, off, s[40:43], 0 offset:452 ; 4-byte Folded Reload
	buffer_load_dword v24, off, s[40:43], 0 offset:456 ; 4-byte Folded Reload
	buffer_load_dword v25, off, s[40:43], 0 offset:460 ; 4-byte Folded Reload
	;; [unrolled: 8-line block ×4, first 2 shown]
	buffer_load_dword v24, off, s[40:43], 0 offset:56 ; 4-byte Folded Reload
	buffer_load_dword v25, off, s[40:43], 0 offset:60 ; 4-byte Folded Reload
	s_waitcnt vmcnt(2)
	v_fma_f64 v[22:23], v[22:23], v[4:5], v[8:9]
	buffer_load_dword v8, off, s[40:43], 0 offset:16 ; 4-byte Folded Reload
	buffer_load_dword v9, off, s[40:43], 0 offset:20 ; 4-byte Folded Reload
	buffer_load_dword v10, off, s[40:43], 0 offset:24 ; 4-byte Folded Reload
	buffer_load_dword v11, off, s[40:43], 0 offset:28 ; 4-byte Folded Reload
	v_fma_f64 v[0:1], v[30:31], v[4:5], v[0:1]
	v_fma_f64 v[6:7], v[32:33], v[4:5], v[6:7]
	s_waitcnt vmcnt(4)
	v_fma_f64 v[12:13], v[24:25], v[4:5], v[12:13]
	v_mov_b32_e32 v35, v29
	v_mov_b32_e32 v34, v28
	;; [unrolled: 1-line block ×4, first 2 shown]
	s_waitcnt vmcnt(2)
	v_fma_f64 v[14:15], v[8:9], v[4:5], v[14:15]
	s_waitcnt vmcnt(0)
	v_fma_f64 v[16:17], v[10:11], v[4:5], v[16:17]
	buffer_load_dword v8, off, s[40:43], 0 offset:160 ; 4-byte Folded Reload
	buffer_load_dword v9, off, s[40:43], 0 offset:164 ; 4-byte Folded Reload
	;; [unrolled: 1-line block ×4, first 2 shown]
	s_waitcnt vmcnt(2)
	v_fma_f64 v[18:19], v[8:9], v[4:5], v[18:19]
	s_waitcnt vmcnt(0)
	v_fma_f64 v[20:21], v[10:11], v[4:5], v[20:21]
	buffer_load_dword v4, off, s[40:43], 0 offset:1408 ; 4-byte Folded Reload
	buffer_load_dword v5, off, s[40:43], 0 offset:1412 ; 4-byte Folded Reload
	buffer_load_dword v8, off, s[40:43], 0 offset:192 ; 4-byte Folded Reload
	buffer_load_dword v9, off, s[40:43], 0 offset:196 ; 4-byte Folded Reload
	buffer_load_dword v10, off, s[40:43], 0 offset:200 ; 4-byte Folded Reload
	buffer_load_dword v11, off, s[40:43], 0 offset:204 ; 4-byte Folded Reload
	s_waitcnt vmcnt(2)
	v_fma_f64 v[0:1], v[8:9], v[4:5], v[0:1]
	buffer_store_dword v0, off, s[40:43], 0 offset:944 ; 4-byte Folded Spill
	s_nop 0
	buffer_store_dword v1, off, s[40:43], 0 offset:948 ; 4-byte Folded Spill
	s_waitcnt vmcnt(2)
	v_fma_f64 v[0:1], v[10:11], v[4:5], v[6:7]
	buffer_store_dword v0, off, s[40:43], 0 offset:1448 ; 4-byte Folded Spill
	s_nop 0
	buffer_store_dword v1, off, s[40:43], 0 offset:1452 ; 4-byte Folded Spill
	buffer_load_dword v0, off, s[40:43], 0 offset:368 ; 4-byte Folded Reload
	s_nop 0
	buffer_load_dword v1, off, s[40:43], 0 offset:372 ; 4-byte Folded Reload
	buffer_load_dword v2, off, s[40:43], 0 offset:376 ; 4-byte Folded Reload
	;; [unrolled: 1-line block ×3, first 2 shown]
	s_waitcnt vmcnt(2)
	v_fma_f64 v[0:1], v[0:1], v[4:5], v[22:23]
	buffer_store_dword v0, off, s[40:43], 0 offset:1440 ; 4-byte Folded Spill
	s_nop 0
	buffer_store_dword v1, off, s[40:43], 0 offset:1444 ; 4-byte Folded Spill
	s_waitcnt vmcnt(2)
	v_fma_f64 v[0:1], v[2:3], v[4:5], v[12:13]
	buffer_store_dword v0, off, s[40:43], 0 offset:1432 ; 4-byte Folded Spill
	s_nop 0
	buffer_store_dword v1, off, s[40:43], 0 offset:1436 ; 4-byte Folded Spill
	buffer_load_dword v0, off, s[40:43], 0 offset:304 ; 4-byte Folded Reload
	s_nop 0
	buffer_load_dword v1, off, s[40:43], 0 offset:308 ; 4-byte Folded Reload
	buffer_load_dword v2, off, s[40:43], 0 offset:312 ; 4-byte Folded Reload
	;; [unrolled: 1-line block ×3, first 2 shown]
	s_waitcnt vmcnt(2)
	v_fma_f64 v[0:1], v[0:1], v[4:5], v[14:15]
	buffer_store_dword v0, off, s[40:43], 0 offset:1288 ; 4-byte Folded Spill
	s_nop 0
	buffer_store_dword v1, off, s[40:43], 0 offset:1292 ; 4-byte Folded Spill
	s_waitcnt vmcnt(2)
	v_fma_f64 v[0:1], v[2:3], v[4:5], v[16:17]
	buffer_store_dword v0, off, s[40:43], 0 offset:1256 ; 4-byte Folded Spill
	s_nop 0
	buffer_store_dword v1, off, s[40:43], 0 offset:1260 ; 4-byte Folded Spill
	v_fma_f64 v[0:1], v[26:27], v[4:5], v[18:19]
	buffer_store_dword v0, off, s[40:43], 0 offset:1104 ; 4-byte Folded Spill
	s_nop 0
	buffer_store_dword v1, off, s[40:43], 0 offset:1108 ; 4-byte Folded Spill
	;; [unrolled: 4-line block ×3, first 2 shown]
	buffer_load_dword v4, off, s[40:43], 0 offset:976 ; 4-byte Folded Reload
	buffer_load_dword v5, off, s[40:43], 0 offset:980 ; 4-byte Folded Reload
	s_waitcnt vmcnt(0)
	v_fma_f64 v[0:1], v[36:37], v[4:5], 0
	v_fma_f64 v[6:7], v[38:39], v[4:5], 0
	;; [unrolled: 1-line block ×8, first 2 shown]
	buffer_load_dword v4, off, s[40:43], 0 offset:928 ; 4-byte Folded Reload
	buffer_load_dword v5, off, s[40:43], 0 offset:932 ; 4-byte Folded Reload
	;; [unrolled: 1-line block ×6, first 2 shown]
	s_waitcnt vmcnt(2)
	v_fma_f64 v[0:1], v[8:9], v[4:5], v[0:1]
	s_waitcnt vmcnt(0)
	v_fma_f64 v[6:7], v[10:11], v[4:5], v[6:7]
	buffer_load_dword v8, off, s[40:43], 0 offset:176 ; 4-byte Folded Reload
	buffer_load_dword v9, off, s[40:43], 0 offset:180 ; 4-byte Folded Reload
	buffer_load_dword v10, off, s[40:43], 0 offset:184 ; 4-byte Folded Reload
	buffer_load_dword v11, off, s[40:43], 0 offset:188 ; 4-byte Folded Reload
	s_waitcnt vmcnt(2)
	v_fma_f64 v[12:13], v[8:9], v[4:5], v[12:13]
	s_waitcnt vmcnt(0)
	v_fma_f64 v[14:15], v[10:11], v[4:5], v[14:15]
	buffer_load_dword v8, off, s[40:43], 0 offset:240 ; 4-byte Folded Reload
	buffer_load_dword v9, off, s[40:43], 0 offset:244 ; 4-byte Folded Reload
	buffer_load_dword v10, off, s[40:43], 0 offset:248 ; 4-byte Folded Reload
	buffer_load_dword v11, off, s[40:43], 0 offset:252 ; 4-byte Folded Reload
	;; [unrolled: 8-line block ×4, first 2 shown]
	buffer_load_dword v10, off, s[40:43], 0 offset:104 ; 4-byte Folded Reload
	buffer_load_dword v11, off, s[40:43], 0 offset:108 ; 4-byte Folded Reload
	s_waitcnt vmcnt(2)
	v_fma_f64 v[0:1], v[8:9], v[4:5], v[0:1]
	s_waitcnt vmcnt(0)
	v_fma_f64 v[6:7], v[10:11], v[4:5], v[6:7]
	buffer_load_dword v8, off, s[40:43], 0 offset:80 ; 4-byte Folded Reload
	buffer_load_dword v9, off, s[40:43], 0 offset:84 ; 4-byte Folded Reload
	buffer_load_dword v10, off, s[40:43], 0 offset:88 ; 4-byte Folded Reload
	buffer_load_dword v11, off, s[40:43], 0 offset:92 ; 4-byte Folded Reload
	s_waitcnt vmcnt(2)
	v_fma_f64 v[12:13], v[8:9], v[4:5], v[12:13]
	s_waitcnt vmcnt(0)
	v_mov_b32_e32 v63, v11
	v_fma_f64 v[14:15], v[10:11], v[4:5], v[14:15]
	v_mov_b32_e32 v62, v10
	v_mov_b32_e32 v61, v9
	;; [unrolled: 1-line block ×3, first 2 shown]
	buffer_load_dword v8, off, s[40:43], 0 offset:496 ; 4-byte Folded Reload
	buffer_load_dword v9, off, s[40:43], 0 offset:500 ; 4-byte Folded Reload
	;; [unrolled: 1-line block ×4, first 2 shown]
	s_waitcnt vmcnt(2)
	v_fma_f64 v[16:17], v[8:9], v[4:5], v[16:17]
	s_waitcnt vmcnt(0)
	v_mov_b32_e32 v43, v11
	v_fma_f64 v[18:19], v[10:11], v[4:5], v[18:19]
	v_mov_b32_e32 v42, v10
	v_mov_b32_e32 v41, v9
	;; [unrolled: 1-line block ×3, first 2 shown]
	buffer_load_dword v8, off, s[40:43], 0 offset:432 ; 4-byte Folded Reload
	buffer_load_dword v9, off, s[40:43], 0 offset:436 ; 4-byte Folded Reload
	;; [unrolled: 1-line block ×4, first 2 shown]
	s_waitcnt vmcnt(2)
	v_fma_f64 v[20:21], v[8:9], v[4:5], v[20:21]
	s_waitcnt vmcnt(0)
	v_fma_f64 v[22:23], v[10:11], v[4:5], v[22:23]
	buffer_load_dword v4, off, s[40:43], 0 offset:896 ; 4-byte Folded Reload
	buffer_load_dword v5, off, s[40:43], 0 offset:900 ; 4-byte Folded Reload
	;; [unrolled: 1-line block ×6, first 2 shown]
	s_waitcnt vmcnt(4)
	v_fma_f64 v[16:17], v[56:57], v[4:5], v[16:17]
	v_fma_f64 v[18:19], v[58:59], v[4:5], v[18:19]
	s_waitcnt vmcnt(2)
	v_fma_f64 v[0:1], v[8:9], v[4:5], v[0:1]
	s_waitcnt vmcnt(0)
	v_fma_f64 v[6:7], v[10:11], v[4:5], v[6:7]
	buffer_load_dword v8, off, s[40:43], 0 offset:128 ; 4-byte Folded Reload
	buffer_load_dword v9, off, s[40:43], 0 offset:132 ; 4-byte Folded Reload
	buffer_load_dword v10, off, s[40:43], 0 offset:136 ; 4-byte Folded Reload
	buffer_load_dword v11, off, s[40:43], 0 offset:140 ; 4-byte Folded Reload
	s_waitcnt vmcnt(2)
	v_fma_f64 v[12:13], v[8:9], v[4:5], v[12:13]
	s_waitcnt vmcnt(0)
	v_fma_f64 v[14:15], v[10:11], v[4:5], v[14:15]
	buffer_load_dword v8, off, s[40:43], 0 offset:112 ; 4-byte Folded Reload
	buffer_load_dword v9, off, s[40:43], 0 offset:116 ; 4-byte Folded Reload
	buffer_load_dword v10, off, s[40:43], 0 offset:120 ; 4-byte Folded Reload
	buffer_load_dword v11, off, s[40:43], 0 offset:124 ; 4-byte Folded Reload
	;; [unrolled: 8-line block ×3, first 2 shown]
	buffer_load_dword v10, off, s[40:43], 0 offset:344 ; 4-byte Folded Reload
	buffer_load_dword v11, off, s[40:43], 0 offset:348 ; 4-byte Folded Reload
	s_waitcnt vmcnt(2)
	v_fma_f64 v[0:1], v[8:9], v[4:5], v[0:1]
	s_waitcnt vmcnt(0)
	v_fma_f64 v[6:7], v[10:11], v[4:5], v[6:7]
	buffer_load_dword v8, off, s[40:43], 0 offset:144 ; 4-byte Folded Reload
	buffer_load_dword v9, off, s[40:43], 0 offset:148 ; 4-byte Folded Reload
	;; [unrolled: 1-line block ×4, first 2 shown]
	s_waitcnt vmcnt(2)
	v_fma_f64 v[12:13], v[8:9], v[4:5], v[12:13]
	s_waitcnt vmcnt(0)
	v_fma_f64 v[14:15], v[10:11], v[4:5], v[14:15]
	buffer_load_dword v8, off, s[40:43], 0  ; 4-byte Folded Reload
	buffer_load_dword v9, off, s[40:43], 0 offset:4 ; 4-byte Folded Reload
	buffer_load_dword v10, off, s[40:43], 0 offset:8 ; 4-byte Folded Reload
	;; [unrolled: 1-line block ×3, first 2 shown]
	s_waitcnt vmcnt(2)
	v_fma_f64 v[16:17], v[8:9], v[4:5], v[16:17]
	s_waitcnt vmcnt(0)
	v_fma_f64 v[18:19], v[10:11], v[4:5], v[18:19]
	buffer_load_dword v8, off, s[40:43], 0 offset:32 ; 4-byte Folded Reload
	buffer_load_dword v9, off, s[40:43], 0 offset:36 ; 4-byte Folded Reload
	;; [unrolled: 1-line block ×4, first 2 shown]
	s_waitcnt vmcnt(2)
	v_fma_f64 v[20:21], v[8:9], v[4:5], v[20:21]
	s_waitcnt vmcnt(0)
	v_fma_f64 v[22:23], v[10:11], v[4:5], v[22:23]
	buffer_load_dword v4, off, s[40:43], 0 offset:1064 ; 4-byte Folded Reload
	buffer_load_dword v5, off, s[40:43], 0 offset:1068 ; 4-byte Folded Reload
	buffer_load_dword v8, off, s[40:43], 0 offset:384 ; 4-byte Folded Reload
	buffer_load_dword v9, off, s[40:43], 0 offset:388 ; 4-byte Folded Reload
	buffer_load_dword v10, off, s[40:43], 0 offset:392 ; 4-byte Folded Reload
	buffer_load_dword v11, off, s[40:43], 0 offset:396 ; 4-byte Folded Reload
	s_waitcnt vmcnt(2)
	v_fma_f64 v[0:1], v[8:9], v[4:5], v[0:1]
	s_waitcnt vmcnt(0)
	v_fma_f64 v[6:7], v[10:11], v[4:5], v[6:7]
	buffer_load_dword v8, off, s[40:43], 0 offset:224 ; 4-byte Folded Reload
	buffer_load_dword v9, off, s[40:43], 0 offset:228 ; 4-byte Folded Reload
	buffer_load_dword v10, off, s[40:43], 0 offset:232 ; 4-byte Folded Reload
	buffer_load_dword v11, off, s[40:43], 0 offset:236 ; 4-byte Folded Reload
	s_waitcnt vmcnt(2)
	v_fma_f64 v[12:13], v[8:9], v[4:5], v[12:13]
	s_waitcnt vmcnt(0)
	v_fma_f64 v[14:15], v[10:11], v[4:5], v[14:15]
	buffer_load_dword v8, off, s[40:43], 0 offset:448 ; 4-byte Folded Reload
	buffer_load_dword v9, off, s[40:43], 0 offset:452 ; 4-byte Folded Reload
	buffer_load_dword v10, off, s[40:43], 0 offset:456 ; 4-byte Folded Reload
	buffer_load_dword v11, off, s[40:43], 0 offset:460 ; 4-byte Folded Reload
	;; [unrolled: 8-line block ×3, first 2 shown]
	s_waitcnt vmcnt(2)
	v_fma_f64 v[20:21], v[8:9], v[4:5], v[20:21]
	s_waitcnt vmcnt(0)
	v_mov_b32_e32 v31, v11
	v_fma_f64 v[22:23], v[10:11], v[4:5], v[22:23]
	v_mov_b32_e32 v30, v10
	v_mov_b32_e32 v29, v9
	;; [unrolled: 1-line block ×3, first 2 shown]
	buffer_load_dword v4, off, s[40:43], 0 offset:1112 ; 4-byte Folded Reload
	buffer_load_dword v5, off, s[40:43], 0 offset:1116 ; 4-byte Folded Reload
	;; [unrolled: 1-line block ×6, first 2 shown]
	s_waitcnt vmcnt(2)
	v_fma_f64 v[0:1], v[8:9], v[4:5], v[0:1]
	s_waitcnt vmcnt(0)
	v_fma_f64 v[24:25], v[10:11], v[4:5], v[6:7]
	buffer_load_dword v6, off, s[40:43], 0 offset:48 ; 4-byte Folded Reload
	buffer_load_dword v7, off, s[40:43], 0 offset:52 ; 4-byte Folded Reload
	buffer_load_dword v8, off, s[40:43], 0 offset:56 ; 4-byte Folded Reload
	buffer_load_dword v9, off, s[40:43], 0 offset:60 ; 4-byte Folded Reload
	s_waitcnt vmcnt(2)
	v_fma_f64 v[12:13], v[6:7], v[4:5], v[12:13]
	s_waitcnt vmcnt(0)
	v_fma_f64 v[14:15], v[8:9], v[4:5], v[14:15]
	buffer_load_dword v6, off, s[40:43], 0 offset:16 ; 4-byte Folded Reload
	buffer_load_dword v7, off, s[40:43], 0 offset:20 ; 4-byte Folded Reload
	buffer_load_dword v8, off, s[40:43], 0 offset:24 ; 4-byte Folded Reload
	buffer_load_dword v9, off, s[40:43], 0 offset:28 ; 4-byte Folded Reload
	;; [unrolled: 8-line block ×4, first 2 shown]
	buffer_load_dword v8, off, s[40:43], 0 offset:200 ; 4-byte Folded Reload
	buffer_load_dword v9, off, s[40:43], 0 offset:204 ; 4-byte Folded Reload
	s_waitcnt vmcnt(2)
	v_fma_f64 v[0:1], v[6:7], v[4:5], v[0:1]
	buffer_store_dword v0, off, s[40:43], 0 offset:896 ; 4-byte Folded Spill
	s_nop 0
	buffer_store_dword v1, off, s[40:43], 0 offset:900 ; 4-byte Folded Spill
	s_waitcnt vmcnt(2)
	v_fma_f64 v[0:1], v[8:9], v[4:5], v[24:25]
	buffer_store_dword v0, off, s[40:43], 0 offset:720 ; 4-byte Folded Spill
	s_nop 0
	buffer_store_dword v1, off, s[40:43], 0 offset:724 ; 4-byte Folded Spill
	buffer_load_dword v0, off, s[40:43], 0 offset:368 ; 4-byte Folded Reload
	s_nop 0
	buffer_load_dword v1, off, s[40:43], 0 offset:372 ; 4-byte Folded Reload
	buffer_load_dword v2, off, s[40:43], 0 offset:376 ; 4-byte Folded Reload
	;; [unrolled: 1-line block ×3, first 2 shown]
	s_waitcnt vmcnt(2)
	v_fma_f64 v[0:1], v[0:1], v[4:5], v[12:13]
	buffer_store_dword v0, off, s[40:43], 0 offset:1464 ; 4-byte Folded Spill
	s_nop 0
	buffer_store_dword v1, off, s[40:43], 0 offset:1468 ; 4-byte Folded Spill
	s_waitcnt vmcnt(2)
	v_fma_f64 v[0:1], v[2:3], v[4:5], v[14:15]
	buffer_store_dword v0, off, s[40:43], 0 offset:768 ; 4-byte Folded Spill
	s_nop 0
	buffer_store_dword v1, off, s[40:43], 0 offset:772 ; 4-byte Folded Spill
	buffer_load_dword v0, off, s[40:43], 0 offset:304 ; 4-byte Folded Reload
	s_nop 0
	buffer_load_dword v1, off, s[40:43], 0 offset:308 ; 4-byte Folded Reload
	buffer_load_dword v2, off, s[40:43], 0 offset:312 ; 4-byte Folded Reload
	;; [unrolled: 1-line block ×3, first 2 shown]
	s_waitcnt vmcnt(2)
	v_fma_f64 v[0:1], v[0:1], v[4:5], v[16:17]
	buffer_store_dword v0, off, s[40:43], 0 offset:1456 ; 4-byte Folded Spill
	s_nop 0
	buffer_store_dword v1, off, s[40:43], 0 offset:1460 ; 4-byte Folded Spill
	s_waitcnt vmcnt(2)
	v_fma_f64 v[0:1], v[2:3], v[4:5], v[18:19]
	buffer_store_dword v0, off, s[40:43], 0 offset:1408 ; 4-byte Folded Spill
	s_nop 0
	buffer_store_dword v1, off, s[40:43], 0 offset:1412 ; 4-byte Folded Spill
	v_fma_f64 v[0:1], v[32:33], v[4:5], v[20:21]
	buffer_store_dword v0, off, s[40:43], 0 offset:1112 ; 4-byte Folded Spill
	s_nop 0
	buffer_store_dword v1, off, s[40:43], 0 offset:1116 ; 4-byte Folded Spill
	;; [unrolled: 4-line block ×3, first 2 shown]
	buffer_load_dword v4, off, s[40:43], 0 offset:688 ; 4-byte Folded Reload
	buffer_load_dword v5, off, s[40:43], 0 offset:692 ; 4-byte Folded Reload
	;; [unrolled: 1-line block ×6, first 2 shown]
	s_waitcnt vmcnt(4)
	v_fma_f64 v[0:1], v[36:37], v[4:5], 0
	v_fma_f64 v[12:13], v[38:39], v[4:5], 0
	;; [unrolled: 1-line block ×6, first 2 shown]
	s_waitcnt vmcnt(2)
	v_fma_f64 v[22:23], v[6:7], v[4:5], 0
	s_waitcnt vmcnt(0)
	v_fma_f64 v[32:33], v[8:9], v[4:5], 0
	buffer_load_dword v4, off, s[40:43], 0 offset:912 ; 4-byte Folded Reload
	buffer_load_dword v5, off, s[40:43], 0 offset:916 ; 4-byte Folded Reload
	;; [unrolled: 1-line block ×6, first 2 shown]
	s_waitcnt vmcnt(2)
	v_fma_f64 v[0:1], v[6:7], v[4:5], v[0:1]
	s_waitcnt vmcnt(0)
	v_fma_f64 v[12:13], v[8:9], v[4:5], v[12:13]
	buffer_load_dword v6, off, s[40:43], 0 offset:176 ; 4-byte Folded Reload
	buffer_load_dword v7, off, s[40:43], 0 offset:180 ; 4-byte Folded Reload
	;; [unrolled: 1-line block ×4, first 2 shown]
	s_waitcnt vmcnt(2)
	v_fma_f64 v[14:15], v[6:7], v[4:5], v[14:15]
	s_waitcnt vmcnt(0)
	v_fma_f64 v[16:17], v[8:9], v[4:5], v[16:17]
	buffer_load_dword v6, off, s[40:43], 0 offset:240 ; 4-byte Folded Reload
	buffer_load_dword v7, off, s[40:43], 0 offset:244 ; 4-byte Folded Reload
	;; [unrolled: 1-line block ×8, first 2 shown]
	s_waitcnt vmcnt(6)
	v_fma_f64 v[18:19], v[6:7], v[4:5], v[18:19]
	s_waitcnt vmcnt(2)
	v_fma_f64 v[22:23], v[56:57], v[4:5], v[22:23]
	v_fma_f64 v[20:21], v[8:9], v[4:5], v[20:21]
	s_waitcnt vmcnt(0)
	v_fma_f64 v[32:33], v[58:59], v[4:5], v[32:33]
	buffer_load_dword v4, off, s[40:43], 0 offset:544 ; 4-byte Folded Reload
	buffer_load_dword v5, off, s[40:43], 0 offset:548 ; 4-byte Folded Reload
	;; [unrolled: 1-line block ×6, first 2 shown]
	s_waitcnt vmcnt(4)
	v_fma_f64 v[14:15], v[60:61], v[4:5], v[14:15]
	v_fma_f64 v[16:17], v[62:63], v[4:5], v[16:17]
	s_waitcnt vmcnt(2)
	v_fma_f64 v[0:1], v[6:7], v[4:5], v[0:1]
	v_mov_b32_e32 v63, v43
	s_waitcnt vmcnt(0)
	v_fma_f64 v[12:13], v[8:9], v[4:5], v[12:13]
	buffer_load_dword v6, off, s[40:43], 0 offset:432 ; 4-byte Folded Reload
	buffer_load_dword v7, off, s[40:43], 0 offset:436 ; 4-byte Folded Reload
	;; [unrolled: 1-line block ×4, first 2 shown]
	v_mov_b32_e32 v62, v42
	v_mov_b32_e32 v61, v41
	;; [unrolled: 1-line block ×3, first 2 shown]
	v_fma_f64 v[18:19], v[60:61], v[4:5], v[18:19]
	v_fma_f64 v[20:21], v[62:63], v[4:5], v[20:21]
	s_waitcnt vmcnt(2)
	v_fma_f64 v[22:23], v[6:7], v[4:5], v[22:23]
	s_waitcnt vmcnt(0)
	v_fma_f64 v[32:33], v[8:9], v[4:5], v[32:33]
	buffer_load_dword v4, off, s[40:43], 0 offset:704 ; 4-byte Folded Reload
	buffer_load_dword v5, off, s[40:43], 0 offset:708 ; 4-byte Folded Reload
	;; [unrolled: 1-line block ×6, first 2 shown]
	s_waitcnt vmcnt(4)
	v_fma_f64 v[18:19], v[52:53], v[4:5], v[18:19]
	v_fma_f64 v[20:21], v[54:55], v[4:5], v[20:21]
	s_waitcnt vmcnt(2)
	v_fma_f64 v[0:1], v[6:7], v[4:5], v[0:1]
	s_waitcnt vmcnt(0)
	v_fma_f64 v[12:13], v[8:9], v[4:5], v[12:13]
	buffer_load_dword v6, off, s[40:43], 0 offset:128 ; 4-byte Folded Reload
	buffer_load_dword v7, off, s[40:43], 0 offset:132 ; 4-byte Folded Reload
	;; [unrolled: 1-line block ×8, first 2 shown]
	s_waitcnt vmcnt(6)
	v_fma_f64 v[14:15], v[6:7], v[4:5], v[14:15]
	s_waitcnt vmcnt(2)
	v_fma_f64 v[22:23], v[52:53], v[4:5], v[22:23]
	v_fma_f64 v[16:17], v[8:9], v[4:5], v[16:17]
	s_waitcnt vmcnt(0)
	v_fma_f64 v[32:33], v[54:55], v[4:5], v[32:33]
	buffer_load_dword v4, off, s[40:43], 0 offset:752 ; 4-byte Folded Reload
	buffer_load_dword v5, off, s[40:43], 0 offset:756 ; 4-byte Folded Reload
	buffer_load_dword v6, off, s[40:43], 0 offset:336 ; 4-byte Folded Reload
	buffer_load_dword v7, off, s[40:43], 0 offset:340 ; 4-byte Folded Reload
	buffer_load_dword v8, off, s[40:43], 0 offset:344 ; 4-byte Folded Reload
	buffer_load_dword v9, off, s[40:43], 0 offset:348 ; 4-byte Folded Reload
	buffer_load_dword v40, off, s[40:43], 0 offset:144 ; 4-byte Folded Reload
	buffer_load_dword v41, off, s[40:43], 0 offset:148 ; 4-byte Folded Reload
	buffer_load_dword v42, off, s[40:43], 0 offset:152 ; 4-byte Folded Reload
	buffer_load_dword v43, off, s[40:43], 0 offset:156 ; 4-byte Folded Reload
	s_waitcnt vmcnt(6)
	v_fma_f64 v[0:1], v[6:7], v[4:5], v[0:1]
	s_waitcnt vmcnt(2)
	v_fma_f64 v[14:15], v[40:41], v[4:5], v[14:15]
	v_fma_f64 v[12:13], v[8:9], v[4:5], v[12:13]
	buffer_load_dword v6, off, s[40:43], 0  ; 4-byte Folded Reload
	buffer_load_dword v7, off, s[40:43], 0 offset:4 ; 4-byte Folded Reload
	buffer_load_dword v8, off, s[40:43], 0 offset:8 ; 4-byte Folded Reload
	;; [unrolled: 1-line block ×3, first 2 shown]
	s_waitcnt vmcnt(4)
	v_fma_f64 v[16:17], v[42:43], v[4:5], v[16:17]
	s_waitcnt vmcnt(2)
	v_fma_f64 v[18:19], v[6:7], v[4:5], v[18:19]
	;; [unrolled: 2-line block ×3, first 2 shown]
	buffer_load_dword v6, off, s[40:43], 0 offset:32 ; 4-byte Folded Reload
	buffer_load_dword v7, off, s[40:43], 0 offset:36 ; 4-byte Folded Reload
	;; [unrolled: 1-line block ×4, first 2 shown]
	s_waitcnt vmcnt(2)
	v_fma_f64 v[22:23], v[6:7], v[4:5], v[22:23]
	s_waitcnt vmcnt(0)
	v_fma_f64 v[32:33], v[8:9], v[4:5], v[32:33]
	buffer_load_dword v4, off, s[40:43], 0 offset:640 ; 4-byte Folded Reload
	buffer_load_dword v5, off, s[40:43], 0 offset:644 ; 4-byte Folded Reload
	;; [unrolled: 1-line block ×10, first 2 shown]
	s_waitcnt vmcnt(8)
	v_fma_f64 v[22:23], v[28:29], v[4:5], v[22:23]
	v_fma_f64 v[32:33], v[30:31], v[4:5], v[32:33]
	s_waitcnt vmcnt(6)
	v_fma_f64 v[0:1], v[24:25], v[4:5], v[0:1]
	s_waitcnt vmcnt(2)
	v_fma_f64 v[14:15], v[6:7], v[4:5], v[14:15]
	v_fma_f64 v[12:13], v[26:27], v[4:5], v[12:13]
	s_waitcnt vmcnt(0)
	v_fma_f64 v[16:17], v[8:9], v[4:5], v[16:17]
	buffer_load_dword v6, off, s[40:43], 0 offset:448 ; 4-byte Folded Reload
	buffer_load_dword v7, off, s[40:43], 0 offset:452 ; 4-byte Folded Reload
	;; [unrolled: 1-line block ×4, first 2 shown]
	s_waitcnt vmcnt(2)
	v_fma_f64 v[18:19], v[6:7], v[4:5], v[18:19]
	s_waitcnt vmcnt(0)
	v_fma_f64 v[20:21], v[8:9], v[4:5], v[20:21]
	buffer_load_dword v4, off, s[40:43], 0 offset:736 ; 4-byte Folded Reload
	buffer_load_dword v5, off, s[40:43], 0 offset:740 ; 4-byte Folded Reload
	;; [unrolled: 1-line block ×10, first 2 shown]
	s_waitcnt vmcnt(6)
	v_fma_f64 v[0:1], v[6:7], v[4:5], v[0:1]
	s_waitcnt vmcnt(2)
	v_fma_f64 v[14:15], v[28:29], v[4:5], v[14:15]
	v_fma_f64 v[34:35], v[8:9], v[4:5], v[12:13]
	buffer_load_dword v10, off, s[40:43], 0 offset:16 ; 4-byte Folded Reload
	buffer_load_dword v11, off, s[40:43], 0 offset:20 ; 4-byte Folded Reload
	;; [unrolled: 1-line block ×4, first 2 shown]
	s_waitcnt vmcnt(4)
	v_fma_f64 v[16:17], v[30:31], v[4:5], v[16:17]
	s_waitcnt vmcnt(2)
	v_fma_f64 v[18:19], v[10:11], v[4:5], v[18:19]
	;; [unrolled: 2-line block ×3, first 2 shown]
	buffer_load_dword v10, off, s[40:43], 0 offset:160 ; 4-byte Folded Reload
	buffer_load_dword v11, off, s[40:43], 0 offset:164 ; 4-byte Folded Reload
	;; [unrolled: 1-line block ×4, first 2 shown]
	s_waitcnt vmcnt(2)
	v_fma_f64 v[22:23], v[10:11], v[4:5], v[22:23]
	s_waitcnt vmcnt(0)
	v_fma_f64 v[32:33], v[12:13], v[4:5], v[32:33]
	buffer_load_dword v4, off, s[40:43], 0 offset:1072 ; 4-byte Folded Reload
	buffer_load_dword v5, off, s[40:43], 0 offset:1076 ; 4-byte Folded Reload
	;; [unrolled: 1-line block ×6, first 2 shown]
	s_waitcnt vmcnt(2)
	v_fma_f64 v[0:1], v[10:11], v[4:5], v[0:1]
	buffer_store_dword v0, off, s[40:43], 0 offset:752 ; 4-byte Folded Spill
	s_nop 0
	buffer_store_dword v1, off, s[40:43], 0 offset:756 ; 4-byte Folded Spill
	s_waitcnt vmcnt(2)
	v_fma_f64 v[0:1], v[12:13], v[4:5], v[34:35]
	buffer_store_dword v0, off, s[40:43], 0 offset:544 ; 4-byte Folded Spill
	s_nop 0
	buffer_store_dword v1, off, s[40:43], 0 offset:548 ; 4-byte Folded Spill
	buffer_load_dword v0, off, s[40:43], 0 offset:368 ; 4-byte Folded Reload
	s_nop 0
	buffer_load_dword v1, off, s[40:43], 0 offset:372 ; 4-byte Folded Reload
	buffer_load_dword v2, off, s[40:43], 0 offset:376 ; 4-byte Folded Reload
	;; [unrolled: 1-line block ×3, first 2 shown]
	s_waitcnt vmcnt(2)
	v_fma_f64 v[14:15], v[0:1], v[4:5], v[14:15]
	buffer_store_dword v14, off, s[40:43], 0 offset:704 ; 4-byte Folded Spill
	s_nop 0
	buffer_store_dword v15, off, s[40:43], 0 offset:708 ; 4-byte Folded Spill
	s_waitcnt vmcnt(2)
	v_fma_f64 v[14:15], v[2:3], v[4:5], v[16:17]
	buffer_store_dword v14, off, s[40:43], 0 offset:736 ; 4-byte Folded Spill
	s_nop 0
	buffer_store_dword v15, off, s[40:43], 0 offset:740 ; 4-byte Folded Spill
	buffer_load_dword v0, off, s[40:43], 0 offset:304 ; 4-byte Folded Reload
	buffer_load_dword v1, off, s[40:43], 0 offset:308 ; 4-byte Folded Reload
	;; [unrolled: 1-line block ×4, first 2 shown]
	s_waitcnt vmcnt(2)
	v_fma_f64 v[14:15], v[0:1], v[4:5], v[18:19]
	buffer_store_dword v14, off, s[40:43], 0 offset:1472 ; 4-byte Folded Spill
	s_nop 0
	buffer_store_dword v15, off, s[40:43], 0 offset:1476 ; 4-byte Folded Spill
	s_waitcnt vmcnt(2)
	v_fma_f64 v[14:15], v[2:3], v[4:5], v[20:21]
	buffer_store_dword v14, off, s[40:43], 0 offset:1264 ; 4-byte Folded Spill
	s_nop 0
	buffer_store_dword v15, off, s[40:43], 0 offset:1268 ; 4-byte Folded Spill
	buffer_load_dword v18, off, s[40:43], 0 offset:256 ; 4-byte Folded Reload
	buffer_load_dword v19, off, s[40:43], 0 offset:260 ; 4-byte Folded Reload
	;; [unrolled: 1-line block ×4, first 2 shown]
	v_mov_b32_e32 v17, v3
	v_mov_b32_e32 v16, v2
	;; [unrolled: 1-line block ×4, first 2 shown]
	s_waitcnt vmcnt(2)
	v_fma_f64 v[22:23], v[18:19], v[4:5], v[22:23]
	s_waitcnt vmcnt(0)
	v_fma_f64 v[4:5], v[20:21], v[4:5], v[32:33]
	buffer_store_dword v4, off, s[40:43], 0 offset:640 ; 4-byte Folded Spill
	s_nop 0
	buffer_store_dword v5, off, s[40:43], 0 offset:644 ; 4-byte Folded Spill
	buffer_load_dword v4, off, s[40:43], 0 offset:560 ; 4-byte Folded Reload
	s_nop 0
	buffer_load_dword v5, off, s[40:43], 0 offset:564 ; 4-byte Folded Reload
	s_waitcnt vmcnt(0)
	v_fma_f64 v[32:33], v[36:37], v[4:5], 0
	v_fma_f64 v[34:35], v[38:39], v[4:5], 0
	;; [unrolled: 1-line block ×6, first 2 shown]
	buffer_load_dword v48, off, s[40:43], 0 offset:464 ; 4-byte Folded Reload
	buffer_load_dword v49, off, s[40:43], 0 offset:468 ; 4-byte Folded Reload
	;; [unrolled: 1-line block ×4, first 2 shown]
	s_waitcnt vmcnt(2)
	v_fma_f64 v[48:49], v[48:49], v[4:5], 0
	s_waitcnt vmcnt(0)
	v_fma_f64 v[50:51], v[50:51], v[4:5], 0
	buffer_load_dword v4, off, s[40:43], 0 offset:672 ; 4-byte Folded Reload
	buffer_load_dword v5, off, s[40:43], 0 offset:676 ; 4-byte Folded Reload
	;; [unrolled: 1-line block ×6, first 2 shown]
	s_waitcnt vmcnt(4)
	v_fma_f64 v[48:49], v[56:57], v[4:5], v[48:49]
	v_fma_f64 v[50:51], v[58:59], v[4:5], v[50:51]
	s_waitcnt vmcnt(2)
	v_fma_f64 v[32:33], v[0:1], v[4:5], v[32:33]
	s_waitcnt vmcnt(0)
	v_fma_f64 v[34:35], v[2:3], v[4:5], v[34:35]
	buffer_load_dword v0, off, s[40:43], 0 offset:176 ; 4-byte Folded Reload
	buffer_load_dword v1, off, s[40:43], 0 offset:180 ; 4-byte Folded Reload
	buffer_load_dword v2, off, s[40:43], 0 offset:184 ; 4-byte Folded Reload
	buffer_load_dword v3, off, s[40:43], 0 offset:188 ; 4-byte Folded Reload
	s_waitcnt vmcnt(2)
	v_fma_f64 v[36:37], v[0:1], v[4:5], v[36:37]
	s_waitcnt vmcnt(0)
	v_fma_f64 v[38:39], v[2:3], v[4:5], v[38:39]
	buffer_load_dword v0, off, s[40:43], 0 offset:240 ; 4-byte Folded Reload
	buffer_load_dword v1, off, s[40:43], 0 offset:244 ; 4-byte Folded Reload
	buffer_load_dword v2, off, s[40:43], 0 offset:248 ; 4-byte Folded Reload
	buffer_load_dword v3, off, s[40:43], 0 offset:252 ; 4-byte Folded Reload
	;; [unrolled: 8-line block ×3, first 2 shown]
	buffer_load_dword v2, off, s[40:43], 0 offset:104 ; 4-byte Folded Reload
	buffer_load_dword v3, off, s[40:43], 0 offset:108 ; 4-byte Folded Reload
	;; [unrolled: 1-line block ×6, first 2 shown]
	s_waitcnt vmcnt(8)
	v_fma_f64 v[44:45], v[60:61], v[4:5], v[44:45]
	v_fma_f64 v[46:47], v[62:63], v[4:5], v[46:47]
	s_waitcnt vmcnt(6)
	v_fma_f64 v[32:33], v[0:1], v[4:5], v[32:33]
	s_waitcnt vmcnt(2)
	v_fma_f64 v[36:37], v[56:57], v[4:5], v[36:37]
	v_fma_f64 v[34:35], v[2:3], v[4:5], v[34:35]
	s_waitcnt vmcnt(0)
	v_fma_f64 v[38:39], v[58:59], v[4:5], v[38:39]
	buffer_load_dword v56, off, s[40:43], 0 offset:432 ; 4-byte Folded Reload
	buffer_load_dword v57, off, s[40:43], 0 offset:436 ; 4-byte Folded Reload
	;; [unrolled: 1-line block ×4, first 2 shown]
	s_waitcnt vmcnt(2)
	v_fma_f64 v[48:49], v[56:57], v[4:5], v[48:49]
	s_waitcnt vmcnt(0)
	v_fma_f64 v[50:51], v[58:59], v[4:5], v[50:51]
	buffer_load_dword v4, off, s[40:43], 0 offset:512 ; 4-byte Folded Reload
	buffer_load_dword v5, off, s[40:43], 0 offset:516 ; 4-byte Folded Reload
	;; [unrolled: 1-line block ×6, first 2 shown]
	s_waitcnt vmcnt(4)
	v_fma_f64 v[48:49], v[52:53], v[4:5], v[48:49]
	v_fma_f64 v[50:51], v[54:55], v[4:5], v[50:51]
	s_waitcnt vmcnt(2)
	v_fma_f64 v[32:33], v[0:1], v[4:5], v[32:33]
	s_waitcnt vmcnt(0)
	v_fma_f64 v[34:35], v[2:3], v[4:5], v[34:35]
	buffer_load_dword v0, off, s[40:43], 0 offset:128 ; 4-byte Folded Reload
	buffer_load_dword v1, off, s[40:43], 0 offset:132 ; 4-byte Folded Reload
	;; [unrolled: 1-line block ×8, first 2 shown]
	s_waitcnt vmcnt(6)
	v_fma_f64 v[36:37], v[0:1], v[4:5], v[36:37]
	s_waitcnt vmcnt(2)
	v_fma_f64 v[44:45], v[56:57], v[4:5], v[44:45]
	v_fma_f64 v[38:39], v[2:3], v[4:5], v[38:39]
	s_waitcnt vmcnt(0)
	v_fma_f64 v[46:47], v[58:59], v[4:5], v[46:47]
	buffer_load_dword v4, off, s[40:43], 0 offset:592 ; 4-byte Folded Reload
	buffer_load_dword v5, off, s[40:43], 0 offset:596 ; 4-byte Folded Reload
	;; [unrolled: 1-line block ×6, first 2 shown]
	s_waitcnt vmcnt(4)
	v_fma_f64 v[36:37], v[40:41], v[4:5], v[36:37]
	v_fma_f64 v[38:39], v[42:43], v[4:5], v[38:39]
	s_waitcnt vmcnt(2)
	v_fma_f64 v[32:33], v[0:1], v[4:5], v[32:33]
	s_waitcnt vmcnt(0)
	v_fma_f64 v[34:35], v[2:3], v[4:5], v[34:35]
	buffer_load_dword v0, off, s[40:43], 0  ; 4-byte Folded Reload
	buffer_load_dword v1, off, s[40:43], 0 offset:4 ; 4-byte Folded Reload
	buffer_load_dword v2, off, s[40:43], 0 offset:8 ; 4-byte Folded Reload
	;; [unrolled: 1-line block ×7, first 2 shown]
	s_waitcnt vmcnt(6)
	v_fma_f64 v[44:45], v[0:1], v[4:5], v[44:45]
	s_waitcnt vmcnt(2)
	v_fma_f64 v[48:49], v[40:41], v[4:5], v[48:49]
	v_fma_f64 v[46:47], v[2:3], v[4:5], v[46:47]
	s_waitcnt vmcnt(0)
	v_fma_f64 v[50:51], v[42:43], v[4:5], v[50:51]
	buffer_load_dword v4, off, s[40:43], 0 offset:624 ; 4-byte Folded Reload
	buffer_load_dword v5, off, s[40:43], 0 offset:628 ; 4-byte Folded Reload
	buffer_load_dword v0, off, s[40:43], 0 offset:224 ; 4-byte Folded Reload
	buffer_load_dword v1, off, s[40:43], 0 offset:228 ; 4-byte Folded Reload
	buffer_load_dword v2, off, s[40:43], 0 offset:232 ; 4-byte Folded Reload
	buffer_load_dword v3, off, s[40:43], 0 offset:236 ; 4-byte Folded Reload
	s_waitcnt vmcnt(2)
	v_fma_f64 v[36:37], v[0:1], v[4:5], v[36:37]
	s_waitcnt vmcnt(0)
	v_fma_f64 v[38:39], v[2:3], v[4:5], v[38:39]
	buffer_load_dword v0, off, s[40:43], 0 offset:448 ; 4-byte Folded Reload
	buffer_load_dword v1, off, s[40:43], 0 offset:452 ; 4-byte Folded Reload
	;; [unrolled: 1-line block ×4, first 2 shown]
	v_fma_f64 v[32:33], v[24:25], v[4:5], v[32:33]
	v_fma_f64 v[34:35], v[26:27], v[4:5], v[34:35]
	s_waitcnt vmcnt(2)
	v_fma_f64 v[44:45], v[0:1], v[4:5], v[44:45]
	s_waitcnt vmcnt(0)
	v_fma_f64 v[46:47], v[2:3], v[4:5], v[46:47]
	buffer_load_dword v0, off, s[40:43], 0 offset:288 ; 4-byte Folded Reload
	buffer_load_dword v1, off, s[40:43], 0 offset:292 ; 4-byte Folded Reload
	;; [unrolled: 1-line block ×4, first 2 shown]
	s_waitcnt vmcnt(2)
	v_fma_f64 v[48:49], v[0:1], v[4:5], v[48:49]
	s_waitcnt vmcnt(0)
	v_fma_f64 v[50:51], v[2:3], v[4:5], v[50:51]
	buffer_load_dword v4, off, s[40:43], 0 offset:608 ; 4-byte Folded Reload
	buffer_load_dword v5, off, s[40:43], 0 offset:612 ; 4-byte Folded Reload
	;; [unrolled: 1-line block ×6, first 2 shown]
	s_waitcnt vmcnt(4)
	v_fma_f64 v[32:33], v[6:7], v[4:5], v[32:33]
	v_fma_f64 v[34:35], v[8:9], v[4:5], v[34:35]
	buffer_load_dword v6, off, s[40:43], 0 offset:160 ; 4-byte Folded Reload
	buffer_load_dword v7, off, s[40:43], 0 offset:164 ; 4-byte Folded Reload
	;; [unrolled: 1-line block ×4, first 2 shown]
	v_fma_f64 v[36:37], v[28:29], v[4:5], v[36:37]
	v_fma_f64 v[38:39], v[30:31], v[4:5], v[38:39]
	s_waitcnt vmcnt(6)
	v_fma_f64 v[44:45], v[0:1], v[4:5], v[44:45]
	s_waitcnt vmcnt(4)
	;; [unrolled: 2-line block ×4, first 2 shown]
	v_fma_f64 v[50:51], v[8:9], v[4:5], v[50:51]
	buffer_load_dword v4, off, s[40:43], 0 offset:656 ; 4-byte Folded Reload
	buffer_load_dword v5, off, s[40:43], 0 offset:660 ; 4-byte Folded Reload
	buffer_load_dword v6, off, s[40:43], 0 offset:368 ; 4-byte Folded Reload
	buffer_load_dword v7, off, s[40:43], 0 offset:372 ; 4-byte Folded Reload
	buffer_load_dword v8, off, s[40:43], 0 offset:376 ; 4-byte Folded Reload
	buffer_load_dword v9, off, s[40:43], 0 offset:380 ; 4-byte Folded Reload
	s_waitcnt vmcnt(4)
	v_fma_f64 v[52:53], v[10:11], v[4:5], v[32:33]
	v_fma_f64 v[42:43], v[12:13], v[4:5], v[34:35]
	s_waitcnt vmcnt(2)
	v_fma_f64 v[56:57], v[6:7], v[4:5], v[36:37]
	s_waitcnt vmcnt(0)
	v_fma_f64 v[58:59], v[8:9], v[4:5], v[38:39]
	v_fma_f64 v[44:45], v[14:15], v[4:5], v[44:45]
	;; [unrolled: 1-line block ×5, first 2 shown]
	buffer_load_dword v32, off, s[40:43], 0 offset:2088 ; 4-byte Folded Reload
	buffer_load_dword v33, off, s[40:43], 0 offset:2092 ; 4-byte Folded Reload
	;; [unrolled: 1-line block ×6, first 2 shown]
	s_waitcnt vmcnt(0)
	v_add_f64 v[10:11], v[32:33], v[4:5]
	buffer_load_dword v4, off, s[40:43], 0 offset:1160 ; 4-byte Folded Reload
	buffer_load_dword v5, off, s[40:43], 0 offset:1164 ; 4-byte Folded Reload
	s_waitcnt vmcnt(0)
	v_add_f64 v[12:13], v[34:35], v[4:5]
	buffer_store_dword v10, off, s[40:43], 0 offset:1008 ; 4-byte Folded Spill
	s_nop 0
	buffer_store_dword v11, off, s[40:43], 0 offset:1012 ; 4-byte Folded Spill
	buffer_store_dword v12, off, s[40:43], 0 offset:1016 ; 4-byte Folded Spill
	;; [unrolled: 1-line block ×3, first 2 shown]
	buffer_load_dword v32, off, s[40:43], 0 offset:2072 ; 4-byte Folded Reload
	buffer_load_dword v33, off, s[40:43], 0 offset:2076 ; 4-byte Folded Reload
	;; [unrolled: 1-line block ×6, first 2 shown]
	s_waitcnt vmcnt(0)
	v_add_f64 v[10:11], v[32:33], v[4:5]
	buffer_load_dword v4, off, s[40:43], 0 offset:1424 ; 4-byte Folded Reload
	buffer_load_dword v5, off, s[40:43], 0 offset:1428 ; 4-byte Folded Reload
	s_waitcnt vmcnt(0)
	v_add_f64 v[12:13], v[34:35], v[4:5]
	buffer_store_dword v10, off, s[40:43], 0 offset:688 ; 4-byte Folded Spill
	s_nop 0
	buffer_store_dword v11, off, s[40:43], 0 offset:692 ; 4-byte Folded Spill
	buffer_store_dword v12, off, s[40:43], 0 offset:696 ; 4-byte Folded Spill
	;; [unrolled: 1-line block ×3, first 2 shown]
	buffer_load_dword v32, off, s[40:43], 0 offset:2056 ; 4-byte Folded Reload
	buffer_load_dword v33, off, s[40:43], 0 offset:2060 ; 4-byte Folded Reload
	;; [unrolled: 1-line block ×8, first 2 shown]
	s_waitcnt vmcnt(2)
	v_add_f64 v[2:3], v[32:33], v[0:1]
	s_waitcnt vmcnt(0)
	v_add_f64 v[4:5], v[34:35], v[4:5]
	buffer_store_dword v2, off, s[40:43], 0 offset:976 ; 4-byte Folded Spill
	s_nop 0
	buffer_store_dword v3, off, s[40:43], 0 offset:980 ; 4-byte Folded Spill
	buffer_store_dword v4, off, s[40:43], 0 offset:984 ; 4-byte Folded Spill
	;; [unrolled: 1-line block ×3, first 2 shown]
	buffer_load_dword v6, off, s[40:43], 0 offset:2040 ; 4-byte Folded Reload
	buffer_load_dword v7, off, s[40:43], 0 offset:2044 ; 4-byte Folded Reload
	buffer_load_dword v8, off, s[40:43], 0 offset:2048 ; 4-byte Folded Reload
	buffer_load_dword v9, off, s[40:43], 0 offset:2052 ; 4-byte Folded Reload
	buffer_load_dword v0, off, s[40:43], 0 offset:752 ; 4-byte Folded Reload
	buffer_load_dword v1, off, s[40:43], 0 offset:756 ; 4-byte Folded Reload
	s_waitcnt vmcnt(2)
	v_add_f64 v[2:3], v[8:9], v[52:53]
	s_waitcnt vmcnt(0)
	v_add_f64 v[0:1], v[6:7], v[0:1]
	buffer_store_dword v0, off, s[40:43], 0 offset:960 ; 4-byte Folded Spill
	s_nop 0
	buffer_store_dword v1, off, s[40:43], 0 offset:964 ; 4-byte Folded Spill
	buffer_store_dword v2, off, s[40:43], 0 offset:968 ; 4-byte Folded Spill
	buffer_store_dword v3, off, s[40:43], 0 offset:972 ; 4-byte Folded Spill
	buffer_load_dword v0, off, s[40:43], 0 offset:2152 ; 4-byte Folded Reload
	s_nop 0
	buffer_load_dword v1, off, s[40:43], 0 offset:2156 ; 4-byte Folded Reload
	buffer_load_dword v2, off, s[40:43], 0 offset:2160 ; 4-byte Folded Reload
	buffer_load_dword v3, off, s[40:43], 0 offset:2164 ; 4-byte Folded Reload
	buffer_load_dword v4, off, s[40:43], 0 offset:880 ; 4-byte Folded Reload
	buffer_load_dword v5, off, s[40:43], 0 offset:884 ; 4-byte Folded Reload
	s_waitcnt vmcnt(0)
	v_add_f64 v[0:1], v[0:1], v[4:5]
	buffer_load_dword v4, off, s[40:43], 0 offset:1152 ; 4-byte Folded Reload
	buffer_load_dword v5, off, s[40:43], 0 offset:1156 ; 4-byte Folded Reload
	s_waitcnt vmcnt(0)
	v_add_f64 v[2:3], v[2:3], v[4:5]
	buffer_store_dword v0, off, s[40:43], 0 offset:944 ; 4-byte Folded Spill
	s_nop 0
	buffer_store_dword v1, off, s[40:43], 0 offset:948 ; 4-byte Folded Spill
	buffer_store_dword v2, off, s[40:43], 0 offset:952 ; 4-byte Folded Spill
	buffer_store_dword v3, off, s[40:43], 0 offset:956 ; 4-byte Folded Spill
	buffer_load_dword v0, off, s[40:43], 0 offset:2136 ; 4-byte Folded Reload
	s_nop 0
	buffer_load_dword v1, off, s[40:43], 0 offset:2140 ; 4-byte Folded Reload
	buffer_load_dword v2, off, s[40:43], 0 offset:2144 ; 4-byte Folded Reload
	buffer_load_dword v3, off, s[40:43], 0 offset:2148 ; 4-byte Folded Reload
	buffer_load_dword v4, off, s[40:43], 0 offset:1320 ; 4-byte Folded Reload
	buffer_load_dword v5, off, s[40:43], 0 offset:1324 ; 4-byte Folded Reload
	s_waitcnt vmcnt(0)
	v_add_f64 v[0:1], v[0:1], v[4:5]
	buffer_load_dword v4, off, s[40:43], 0 offset:1416 ; 4-byte Folded Reload
	buffer_load_dword v5, off, s[40:43], 0 offset:1420 ; 4-byte Folded Reload
	;; [unrolled: 18-line block ×3, first 2 shown]
	s_waitcnt vmcnt(0)
	v_add_f64 v[2:3], v[2:3], v[4:5]
	buffer_store_dword v0, off, s[40:43], 0 offset:912 ; 4-byte Folded Spill
	s_nop 0
	buffer_store_dword v1, off, s[40:43], 0 offset:916 ; 4-byte Folded Spill
	buffer_store_dword v2, off, s[40:43], 0 offset:920 ; 4-byte Folded Spill
	;; [unrolled: 1-line block ×3, first 2 shown]
	buffer_load_dword v0, off, s[40:43], 0 offset:2104 ; 4-byte Folded Reload
	s_nop 0
	buffer_load_dword v1, off, s[40:43], 0 offset:2108 ; 4-byte Folded Reload
	buffer_load_dword v2, off, s[40:43], 0 offset:2112 ; 4-byte Folded Reload
	;; [unrolled: 1-line block ×5, first 2 shown]
	s_waitcnt vmcnt(2)
	v_add_f64 v[2:3], v[2:3], v[42:43]
	s_waitcnt vmcnt(0)
	v_add_f64 v[0:1], v[0:1], v[4:5]
	buffer_store_dword v0, off, s[40:43], 0 offset:896 ; 4-byte Folded Spill
	s_nop 0
	buffer_store_dword v1, off, s[40:43], 0 offset:900 ; 4-byte Folded Spill
	buffer_store_dword v2, off, s[40:43], 0 offset:904 ; 4-byte Folded Spill
	buffer_store_dword v3, off, s[40:43], 0 offset:908 ; 4-byte Folded Spill
	buffer_load_dword v0, off, s[40:43], 0 offset:2216 ; 4-byte Folded Reload
	s_nop 0
	buffer_load_dword v1, off, s[40:43], 0 offset:2220 ; 4-byte Folded Reload
	buffer_load_dword v2, off, s[40:43], 0 offset:2224 ; 4-byte Folded Reload
	buffer_load_dword v3, off, s[40:43], 0 offset:2228 ; 4-byte Folded Reload
	buffer_load_dword v4, off, s[40:43], 0 offset:864 ; 4-byte Folded Reload
	buffer_load_dword v5, off, s[40:43], 0 offset:868 ; 4-byte Folded Reload
	s_waitcnt vmcnt(0)
	v_add_f64 v[0:1], v[0:1], v[4:5]
	buffer_load_dword v4, off, s[40:43], 0 offset:1144 ; 4-byte Folded Reload
	buffer_load_dword v5, off, s[40:43], 0 offset:1148 ; 4-byte Folded Reload
	s_waitcnt vmcnt(0)
	v_add_f64 v[2:3], v[2:3], v[4:5]
	buffer_store_dword v0, off, s[40:43], 0 offset:544 ; 4-byte Folded Spill
	s_nop 0
	buffer_store_dword v1, off, s[40:43], 0 offset:548 ; 4-byte Folded Spill
	buffer_store_dword v2, off, s[40:43], 0 offset:552 ; 4-byte Folded Spill
	buffer_store_dword v3, off, s[40:43], 0 offset:556 ; 4-byte Folded Spill
	buffer_load_dword v0, off, s[40:43], 0 offset:2200 ; 4-byte Folded Reload
	s_nop 0
	buffer_load_dword v1, off, s[40:43], 0 offset:2204 ; 4-byte Folded Reload
	buffer_load_dword v2, off, s[40:43], 0 offset:2208 ; 4-byte Folded Reload
	buffer_load_dword v3, off, s[40:43], 0 offset:2212 ; 4-byte Folded Reload
	buffer_load_dword v4, off, s[40:43], 0 offset:1312 ; 4-byte Folded Reload
	buffer_load_dword v5, off, s[40:43], 0 offset:1316 ; 4-byte Folded Reload
	s_waitcnt vmcnt(0)
	v_add_f64 v[0:1], v[0:1], v[4:5]
	buffer_load_dword v4, off, s[40:43], 0 offset:1336 ; 4-byte Folded Reload
	buffer_load_dword v5, off, s[40:43], 0 offset:1340 ; 4-byte Folded Reload
	;; [unrolled: 18-line block ×3, first 2 shown]
	s_waitcnt vmcnt(0)
	v_add_f64 v[2:3], v[2:3], v[4:5]
	buffer_store_dword v0, off, s[40:43], 0 offset:560 ; 4-byte Folded Spill
	s_nop 0
	buffer_store_dword v1, off, s[40:43], 0 offset:564 ; 4-byte Folded Spill
	buffer_store_dword v2, off, s[40:43], 0 offset:568 ; 4-byte Folded Spill
	;; [unrolled: 1-line block ×3, first 2 shown]
	buffer_load_dword v0, off, s[40:43], 0 offset:2168 ; 4-byte Folded Reload
	s_nop 0
	buffer_load_dword v1, off, s[40:43], 0 offset:2172 ; 4-byte Folded Reload
	buffer_load_dword v2, off, s[40:43], 0 offset:2176 ; 4-byte Folded Reload
	;; [unrolled: 1-line block ×5, first 2 shown]
	s_waitcnt vmcnt(2)
	v_add_f64 v[38:39], v[2:3], v[56:57]
	s_waitcnt vmcnt(0)
	v_add_f64 v[36:37], v[0:1], v[4:5]
	buffer_load_dword v0, off, s[40:43], 0 offset:2280 ; 4-byte Folded Reload
	buffer_load_dword v1, off, s[40:43], 0 offset:2284 ; 4-byte Folded Reload
	;; [unrolled: 1-line block ×6, first 2 shown]
	s_waitcnt vmcnt(0)
	v_add_f64 v[32:33], v[0:1], v[4:5]
	buffer_load_dword v0, off, s[40:43], 0 offset:1136 ; 4-byte Folded Reload
	buffer_load_dword v1, off, s[40:43], 0 offset:1140 ; 4-byte Folded Reload
	s_waitcnt vmcnt(0)
	v_add_f64 v[34:35], v[2:3], v[0:1]
	buffer_load_dword v0, off, s[40:43], 0 offset:2264 ; 4-byte Folded Reload
	buffer_load_dword v1, off, s[40:43], 0 offset:2268 ; 4-byte Folded Reload
	;; [unrolled: 1-line block ×6, first 2 shown]
	s_waitcnt vmcnt(0)
	v_add_f64 v[0:1], v[0:1], v[4:5]
	buffer_load_dword v4, off, s[40:43], 0 offset:1272 ; 4-byte Folded Reload
	buffer_load_dword v5, off, s[40:43], 0 offset:1276 ; 4-byte Folded Reload
	s_waitcnt vmcnt(0)
	v_add_f64 v[2:3], v[2:3], v[4:5]
	buffer_store_dword v0, off, s[40:43], 0 offset:752 ; 4-byte Folded Spill
	s_nop 0
	buffer_store_dword v1, off, s[40:43], 0 offset:756 ; 4-byte Folded Spill
	buffer_store_dword v2, off, s[40:43], 0 offset:760 ; 4-byte Folded Spill
	;; [unrolled: 1-line block ×3, first 2 shown]
	buffer_load_dword v0, off, s[40:43], 0 offset:2248 ; 4-byte Folded Reload
	s_nop 0
	buffer_load_dword v1, off, s[40:43], 0 offset:2252 ; 4-byte Folded Reload
	buffer_load_dword v2, off, s[40:43], 0 offset:2256 ; 4-byte Folded Reload
	;; [unrolled: 1-line block ×5, first 2 shown]
	s_waitcnt vmcnt(0)
	v_add_f64 v[0:1], v[0:1], v[4:5]
	buffer_load_dword v4, off, s[40:43], 0 offset:768 ; 4-byte Folded Reload
	buffer_load_dword v5, off, s[40:43], 0 offset:772 ; 4-byte Folded Reload
	s_waitcnt vmcnt(0)
	v_add_f64 v[2:3], v[2:3], v[4:5]
	buffer_store_dword v0, off, s[40:43], 0 offset:704 ; 4-byte Folded Spill
	s_nop 0
	buffer_store_dword v1, off, s[40:43], 0 offset:708 ; 4-byte Folded Spill
	buffer_store_dword v2, off, s[40:43], 0 offset:712 ; 4-byte Folded Spill
	;; [unrolled: 1-line block ×3, first 2 shown]
	buffer_load_dword v0, off, s[40:43], 0 offset:2232 ; 4-byte Folded Reload
	s_nop 0
	buffer_load_dword v1, off, s[40:43], 0 offset:2236 ; 4-byte Folded Reload
	buffer_load_dword v2, off, s[40:43], 0 offset:2240 ; 4-byte Folded Reload
	;; [unrolled: 1-line block ×5, first 2 shown]
	s_waitcnt vmcnt(2)
	v_add_f64 v[30:31], v[2:3], v[58:59]
	s_waitcnt vmcnt(0)
	v_add_f64 v[28:29], v[0:1], v[4:5]
	buffer_load_dword v0, off, s[40:43], 0 offset:2344 ; 4-byte Folded Reload
	buffer_load_dword v1, off, s[40:43], 0 offset:2348 ; 4-byte Folded Reload
	;; [unrolled: 1-line block ×6, first 2 shown]
	s_waitcnt vmcnt(0)
	v_add_f64 v[0:1], v[0:1], v[4:5]
	buffer_load_dword v4, off, s[40:43], 0 offset:1128 ; 4-byte Folded Reload
	buffer_load_dword v5, off, s[40:43], 0 offset:1132 ; 4-byte Folded Reload
	s_waitcnt vmcnt(0)
	v_add_f64 v[2:3], v[2:3], v[4:5]
	buffer_store_dword v0, off, s[40:43], 0 offset:592 ; 4-byte Folded Spill
	s_nop 0
	buffer_store_dword v1, off, s[40:43], 0 offset:596 ; 4-byte Folded Spill
	buffer_store_dword v2, off, s[40:43], 0 offset:600 ; 4-byte Folded Spill
	buffer_store_dword v3, off, s[40:43], 0 offset:604 ; 4-byte Folded Spill
	buffer_load_dword v0, off, s[40:43], 0 offset:2328 ; 4-byte Folded Reload
	s_nop 0
	buffer_load_dword v1, off, s[40:43], 0 offset:2332 ; 4-byte Folded Reload
	buffer_load_dword v2, off, s[40:43], 0 offset:2336 ; 4-byte Folded Reload
	buffer_load_dword v3, off, s[40:43], 0 offset:2340 ; 4-byte Folded Reload
	buffer_load_dword v4, off, s[40:43], 0 offset:1296 ; 4-byte Folded Reload
	buffer_load_dword v5, off, s[40:43], 0 offset:1300 ; 4-byte Folded Reload
	s_waitcnt vmcnt(0)
	v_add_f64 v[0:1], v[0:1], v[4:5]
	buffer_load_dword v4, off, s[40:43], 0 offset:1248 ; 4-byte Folded Reload
	buffer_load_dword v5, off, s[40:43], 0 offset:1252 ; 4-byte Folded Reload
	s_waitcnt vmcnt(0)
	v_add_f64 v[2:3], v[2:3], v[4:5]
	buffer_store_dword v0, off, s[40:43], 0 offset:880 ; 4-byte Folded Spill
	s_nop 0
	buffer_store_dword v1, off, s[40:43], 0 offset:884 ; 4-byte Folded Spill
	buffer_store_dword v2, off, s[40:43], 0 offset:888 ; 4-byte Folded Spill
	buffer_store_dword v3, off, s[40:43], 0 offset:892 ; 4-byte Folded Spill
	buffer_load_dword v0, off, s[40:43], 0 offset:2312 ; 4-byte Folded Reload
	s_nop 0
	buffer_load_dword v1, off, s[40:43], 0 offset:2316 ; 4-byte Folded Reload
	buffer_load_dword v2, off, s[40:43], 0 offset:2320 ; 4-byte Folded Reload
	buffer_load_dword v3, off, s[40:43], 0 offset:2324 ; 4-byte Folded Reload
	buffer_load_dword v4, off, s[40:43], 0 offset:1288 ; 4-byte Folded Reload
	buffer_load_dword v5, off, s[40:43], 0 offset:1292 ; 4-byte Folded Reload
	;; [unrolled: 18-line block ×3, first 2 shown]
	s_waitcnt vmcnt(2)
	v_add_f64 v[42:43], v[2:3], v[44:45]
	s_waitcnt vmcnt(0)
	v_add_f64 v[40:41], v[0:1], v[4:5]
	buffer_load_dword v0, off, s[40:43], 0 offset:2408 ; 4-byte Folded Reload
	buffer_load_dword v1, off, s[40:43], 0 offset:2412 ; 4-byte Folded Reload
	buffer_load_dword v2, off, s[40:43], 0 offset:2416 ; 4-byte Folded Reload
	buffer_load_dword v3, off, s[40:43], 0 offset:2420 ; 4-byte Folded Reload
	buffer_load_dword v4, off, s[40:43], 0 offset:816 ; 4-byte Folded Reload
	buffer_load_dword v5, off, s[40:43], 0 offset:820 ; 4-byte Folded Reload
	s_waitcnt vmcnt(0)
	v_add_f64 v[16:17], v[0:1], v[4:5]
	buffer_load_dword v0, off, s[40:43], 0 offset:1120 ; 4-byte Folded Reload
	buffer_load_dword v1, off, s[40:43], 0 offset:1124 ; 4-byte Folded Reload
	s_waitcnt vmcnt(0)
	v_add_f64 v[18:19], v[2:3], v[0:1]
	buffer_load_dword v0, off, s[40:43], 0 offset:2392 ; 4-byte Folded Reload
	buffer_load_dword v1, off, s[40:43], 0 offset:2396 ; 4-byte Folded Reload
	buffer_load_dword v2, off, s[40:43], 0 offset:2400 ; 4-byte Folded Reload
	buffer_load_dword v3, off, s[40:43], 0 offset:2404 ; 4-byte Folded Reload
	buffer_load_dword v4, off, s[40:43], 0 offset:1280 ; 4-byte Folded Reload
	buffer_load_dword v5, off, s[40:43], 0 offset:1284 ; 4-byte Folded Reload
	s_waitcnt vmcnt(0)
	v_add_f64 v[12:13], v[0:1], v[4:5]
	buffer_load_dword v0, off, s[40:43], 0 offset:1096 ; 4-byte Folded Reload
	buffer_load_dword v1, off, s[40:43], 0 offset:1100 ; 4-byte Folded Reload
	;; [unrolled: 12-line block ×3, first 2 shown]
	s_waitcnt vmcnt(0)
	v_add_f64 v[10:11], v[2:3], v[0:1]
	buffer_load_dword v0, off, s[40:43], 0 offset:2360 ; 4-byte Folded Reload
	buffer_load_dword v1, off, s[40:43], 0 offset:2364 ; 4-byte Folded Reload
	;; [unrolled: 1-line block ×6, first 2 shown]
	s_waitcnt vmcnt(2)
	v_add_f64 v[2:3], v[2:3], v[46:47]
	s_waitcnt vmcnt(0)
	v_add_f64 v[0:1], v[0:1], v[4:5]
	buffer_store_dword v0, off, s[40:43], 0 offset:736 ; 4-byte Folded Spill
	s_nop 0
	buffer_store_dword v1, off, s[40:43], 0 offset:740 ; 4-byte Folded Spill
	buffer_store_dword v2, off, s[40:43], 0 offset:744 ; 4-byte Folded Spill
	;; [unrolled: 1-line block ×3, first 2 shown]
	buffer_load_dword v0, off, s[40:43], 0 offset:2472 ; 4-byte Folded Reload
	s_nop 0
	buffer_load_dword v1, off, s[40:43], 0 offset:2476 ; 4-byte Folded Reload
	buffer_load_dword v2, off, s[40:43], 0 offset:2480 ; 4-byte Folded Reload
	;; [unrolled: 1-line block ×5, first 2 shown]
	s_waitcnt vmcnt(0)
	v_add_f64 v[4:5], v[0:1], v[4:5]
	buffer_load_dword v0, off, s[40:43], 0 offset:1088 ; 4-byte Folded Reload
	buffer_load_dword v1, off, s[40:43], 0 offset:1092 ; 4-byte Folded Reload
	s_waitcnt vmcnt(0)
	v_add_f64 v[6:7], v[2:3], v[0:1]
	buffer_load_dword v0, off, s[40:43], 0 offset:2456 ; 4-byte Folded Reload
	buffer_load_dword v1, off, s[40:43], 0 offset:2460 ; 4-byte Folded Reload
	;; [unrolled: 1-line block ×6, first 2 shown]
	s_waitcnt vmcnt(0)
	v_add_f64 v[0:1], v[0:1], v[20:21]
	buffer_load_dword v20, off, s[40:43], 0 offset:1048 ; 4-byte Folded Reload
	buffer_load_dword v21, off, s[40:43], 0 offset:1052 ; 4-byte Folded Reload
	s_waitcnt vmcnt(0)
	v_add_f64 v[2:3], v[2:3], v[20:21]
	buffer_store_dword v0, off, s[40:43], 0 offset:864 ; 4-byte Folded Spill
	s_nop 0
	buffer_store_dword v1, off, s[40:43], 0 offset:868 ; 4-byte Folded Spill
	buffer_store_dword v2, off, s[40:43], 0 offset:872 ; 4-byte Folded Spill
	;; [unrolled: 1-line block ×3, first 2 shown]
	buffer_load_dword v0, off, s[40:43], 0 offset:2440 ; 4-byte Folded Reload
	s_nop 0
	buffer_load_dword v1, off, s[40:43], 0 offset:2444 ; 4-byte Folded Reload
	buffer_load_dword v2, off, s[40:43], 0 offset:2448 ; 4-byte Folded Reload
	;; [unrolled: 1-line block ×5, first 2 shown]
	s_waitcnt vmcnt(0)
	v_add_f64 v[0:1], v[0:1], v[20:21]
	buffer_load_dword v20, off, s[40:43], 0 offset:1112 ; 4-byte Folded Reload
	buffer_load_dword v21, off, s[40:43], 0 offset:1116 ; 4-byte Folded Reload
	s_waitcnt vmcnt(0)
	v_add_f64 v[2:3], v[2:3], v[20:21]
	buffer_store_dword v0, off, s[40:43], 0 offset:848 ; 4-byte Folded Spill
	s_nop 0
	buffer_store_dword v1, off, s[40:43], 0 offset:852 ; 4-byte Folded Spill
	buffer_store_dword v2, off, s[40:43], 0 offset:856 ; 4-byte Folded Spill
	;; [unrolled: 1-line block ×3, first 2 shown]
	buffer_load_dword v0, off, s[40:43], 0 offset:2424 ; 4-byte Folded Reload
	s_nop 0
	buffer_load_dword v1, off, s[40:43], 0 offset:2428 ; 4-byte Folded Reload
	buffer_load_dword v2, off, s[40:43], 0 offset:2432 ; 4-byte Folded Reload
	;; [unrolled: 1-line block ×3, first 2 shown]
	s_waitcnt vmcnt(2)
	v_add_f64 v[0:1], v[0:1], v[22:23]
	s_waitcnt vmcnt(0)
	v_add_f64 v[2:3], v[2:3], v[48:49]
	buffer_store_dword v0, off, s[40:43], 0 offset:832 ; 4-byte Folded Spill
	s_nop 0
	buffer_store_dword v1, off, s[40:43], 0 offset:836 ; 4-byte Folded Spill
	buffer_store_dword v2, off, s[40:43], 0 offset:840 ; 4-byte Folded Spill
	buffer_store_dword v3, off, s[40:43], 0 offset:844 ; 4-byte Folded Spill
	buffer_load_dword v0, off, s[40:43], 0 offset:2536 ; 4-byte Folded Reload
	s_nop 0
	buffer_load_dword v1, off, s[40:43], 0 offset:2540 ; 4-byte Folded Reload
	buffer_load_dword v2, off, s[40:43], 0 offset:2544 ; 4-byte Folded Reload
	buffer_load_dword v3, off, s[40:43], 0 offset:2548 ; 4-byte Folded Reload
	buffer_load_dword v20, off, s[40:43], 0 offset:784 ; 4-byte Folded Reload
	buffer_load_dword v21, off, s[40:43], 0 offset:788 ; 4-byte Folded Reload
	s_waitcnt vmcnt(0)
	v_add_f64 v[0:1], v[0:1], v[20:21]
	buffer_load_dword v20, off, s[40:43], 0 offset:1080 ; 4-byte Folded Reload
	buffer_load_dword v21, off, s[40:43], 0 offset:1084 ; 4-byte Folded Reload
	s_waitcnt vmcnt(0)
	v_add_f64 v[2:3], v[2:3], v[20:21]
	buffer_store_dword v0, off, s[40:43], 0 offset:816 ; 4-byte Folded Spill
	s_nop 0
	buffer_store_dword v1, off, s[40:43], 0 offset:820 ; 4-byte Folded Spill
	buffer_store_dword v2, off, s[40:43], 0 offset:824 ; 4-byte Folded Spill
	buffer_store_dword v3, off, s[40:43], 0 offset:828 ; 4-byte Folded Spill
	buffer_load_dword v0, off, s[40:43], 0 offset:2520 ; 4-byte Folded Reload
	s_nop 0
	buffer_load_dword v1, off, s[40:43], 0 offset:2524 ; 4-byte Folded Reload
	buffer_load_dword v2, off, s[40:43], 0 offset:2528 ; 4-byte Folded Reload
	buffer_load_dword v3, off, s[40:43], 0 offset:2532 ; 4-byte Folded Reload
	buffer_load_dword v20, off, s[40:43], 0 offset:1232 ; 4-byte Folded Reload
	buffer_load_dword v21, off, s[40:43], 0 offset:1236 ; 4-byte Folded Reload
	s_waitcnt vmcnt(0)
	v_add_f64 v[0:1], v[0:1], v[20:21]
	buffer_load_dword v20, off, s[40:43], 0 offset:1040 ; 4-byte Folded Reload
	buffer_load_dword v21, off, s[40:43], 0 offset:1044 ; 4-byte Folded Reload
	;; [unrolled: 18-line block ×3, first 2 shown]
	s_waitcnt vmcnt(0)
	v_add_f64 v[2:3], v[2:3], v[20:21]
	buffer_store_dword v0, off, s[40:43], 0 offset:784 ; 4-byte Folded Spill
	s_nop 0
	buffer_store_dword v1, off, s[40:43], 0 offset:788 ; 4-byte Folded Spill
	buffer_store_dword v2, off, s[40:43], 0 offset:792 ; 4-byte Folded Spill
	;; [unrolled: 1-line block ×3, first 2 shown]
	buffer_load_dword v0, off, s[40:43], 0 offset:2488 ; 4-byte Folded Reload
	s_nop 0
	buffer_load_dword v1, off, s[40:43], 0 offset:2492 ; 4-byte Folded Reload
	buffer_load_dword v2, off, s[40:43], 0 offset:2496 ; 4-byte Folded Reload
	;; [unrolled: 1-line block ×5, first 2 shown]
	s_waitcnt vmcnt(2)
	v_add_f64 v[2:3], v[2:3], v[50:51]
	s_waitcnt vmcnt(0)
	v_add_f64 v[0:1], v[0:1], v[20:21]
	buffer_store_dword v0, off, s[40:43], 0 offset:992 ; 4-byte Folded Spill
	s_nop 0
	buffer_store_dword v1, off, s[40:43], 0 offset:996 ; 4-byte Folded Spill
	buffer_store_dword v2, off, s[40:43], 0 offset:1000 ; 4-byte Folded Spill
	;; [unrolled: 1-line block ×3, first 2 shown]
	buffer_load_dword v0, off, s[40:43], 0 offset:1024 ; 4-byte Folded Reload
	s_nop 0
	buffer_load_dword v1, off, s[40:43], 0 offset:1028 ; 4-byte Folded Reload
	buffer_load_dword v2, off, s[40:43], 0 offset:576 ; 4-byte Folded Reload
	;; [unrolled: 1-line block ×3, first 2 shown]
	s_waitcnt vmcnt(0)
	global_store_dwordx2 v[0:1], v[2:3], off
	s_branch .LBB0_43
.LBB0_53:
	s_endpgm
	.section	.rodata,"a",@progbits
	.p2align	6, 0x0
	.amdhsa_kernel _Z6kalmanILi8EEvPKdiS1_S1_S1_S1_S1_bS1_iPdS2_S2_iiS2_bS2_
		.amdhsa_group_segment_fixed_size 0
		.amdhsa_private_segment_fixed_size 2588
		.amdhsa_kernarg_size 392
		.amdhsa_user_sgpr_count 6
		.amdhsa_user_sgpr_private_segment_buffer 1
		.amdhsa_user_sgpr_dispatch_ptr 0
		.amdhsa_user_sgpr_queue_ptr 0
		.amdhsa_user_sgpr_kernarg_segment_ptr 1
		.amdhsa_user_sgpr_dispatch_id 0
		.amdhsa_user_sgpr_flat_scratch_init 0
		.amdhsa_user_sgpr_private_segment_size 0
		.amdhsa_uses_dynamic_stack 0
		.amdhsa_system_sgpr_private_segment_wavefront_offset 1
		.amdhsa_system_sgpr_workgroup_id_x 1
		.amdhsa_system_sgpr_workgroup_id_y 0
		.amdhsa_system_sgpr_workgroup_id_z 0
		.amdhsa_system_sgpr_workgroup_info 0
		.amdhsa_system_vgpr_workitem_id 0
		.amdhsa_next_free_vgpr 64
		.amdhsa_next_free_sgpr 44
		.amdhsa_reserve_vcc 1
		.amdhsa_reserve_flat_scratch 0
		.amdhsa_float_round_mode_32 0
		.amdhsa_float_round_mode_16_64 0
		.amdhsa_float_denorm_mode_32 3
		.amdhsa_float_denorm_mode_16_64 3
		.amdhsa_dx10_clamp 1
		.amdhsa_ieee_mode 1
		.amdhsa_fp16_overflow 0
		.amdhsa_exception_fp_ieee_invalid_op 0
		.amdhsa_exception_fp_denorm_src 0
		.amdhsa_exception_fp_ieee_div_zero 0
		.amdhsa_exception_fp_ieee_overflow 0
		.amdhsa_exception_fp_ieee_underflow 0
		.amdhsa_exception_fp_ieee_inexact 0
		.amdhsa_exception_int_div_zero 0
	.end_amdhsa_kernel
	.section	.text._Z6kalmanILi8EEvPKdiS1_S1_S1_S1_S1_bS1_iPdS2_S2_iiS2_bS2_,"axG",@progbits,_Z6kalmanILi8EEvPKdiS1_S1_S1_S1_S1_bS1_iPdS2_S2_iiS2_bS2_,comdat
.Lfunc_end0:
	.size	_Z6kalmanILi8EEvPKdiS1_S1_S1_S1_S1_bS1_iPdS2_S2_iiS2_bS2_, .Lfunc_end0-_Z6kalmanILi8EEvPKdiS1_S1_S1_S1_S1_bS1_iPdS2_S2_iiS2_bS2_
                                        ; -- End function
	.set _Z6kalmanILi8EEvPKdiS1_S1_S1_S1_S1_bS1_iPdS2_S2_iiS2_bS2_.num_vgpr, 64
	.set _Z6kalmanILi8EEvPKdiS1_S1_S1_S1_S1_bS1_iPdS2_S2_iiS2_bS2_.num_agpr, 0
	.set _Z6kalmanILi8EEvPKdiS1_S1_S1_S1_S1_bS1_iPdS2_S2_iiS2_bS2_.numbered_sgpr, 44
	.set _Z6kalmanILi8EEvPKdiS1_S1_S1_S1_S1_bS1_iPdS2_S2_iiS2_bS2_.num_named_barrier, 0
	.set _Z6kalmanILi8EEvPKdiS1_S1_S1_S1_S1_bS1_iPdS2_S2_iiS2_bS2_.private_seg_size, 2588
	.set _Z6kalmanILi8EEvPKdiS1_S1_S1_S1_S1_bS1_iPdS2_S2_iiS2_bS2_.uses_vcc, 1
	.set _Z6kalmanILi8EEvPKdiS1_S1_S1_S1_S1_bS1_iPdS2_S2_iiS2_bS2_.uses_flat_scratch, 0
	.set _Z6kalmanILi8EEvPKdiS1_S1_S1_S1_S1_bS1_iPdS2_S2_iiS2_bS2_.has_dyn_sized_stack, 0
	.set _Z6kalmanILi8EEvPKdiS1_S1_S1_S1_S1_bS1_iPdS2_S2_iiS2_bS2_.has_recursion, 0
	.set _Z6kalmanILi8EEvPKdiS1_S1_S1_S1_S1_bS1_iPdS2_S2_iiS2_bS2_.has_indirect_call, 0
	.section	.AMDGPU.csdata,"",@progbits
; Kernel info:
; codeLenInByte = 96576
; TotalNumSgprs: 48
; NumVgprs: 64
; ScratchSize: 2588
; MemoryBound: 0
; FloatMode: 240
; IeeeMode: 1
; LDSByteSize: 0 bytes/workgroup (compile time only)
; SGPRBlocks: 5
; VGPRBlocks: 15
; NumSGPRsForWavesPerEU: 48
; NumVGPRsForWavesPerEU: 64
; Occupancy: 4
; WaveLimiterHint : 0
; COMPUTE_PGM_RSRC2:SCRATCH_EN: 1
; COMPUTE_PGM_RSRC2:USER_SGPR: 6
; COMPUTE_PGM_RSRC2:TRAP_HANDLER: 0
; COMPUTE_PGM_RSRC2:TGID_X_EN: 1
; COMPUTE_PGM_RSRC2:TGID_Y_EN: 0
; COMPUTE_PGM_RSRC2:TGID_Z_EN: 0
; COMPUTE_PGM_RSRC2:TIDIG_COMP_CNT: 0
	.section	.AMDGPU.gpr_maximums,"",@progbits
	.set amdgpu.max_num_vgpr, 0
	.set amdgpu.max_num_agpr, 0
	.set amdgpu.max_num_sgpr, 0
	.section	.AMDGPU.csdata,"",@progbits
	.type	__hip_cuid_c5f01189283a6342,@object ; @__hip_cuid_c5f01189283a6342
	.section	.bss,"aw",@nobits
	.globl	__hip_cuid_c5f01189283a6342
__hip_cuid_c5f01189283a6342:
	.byte	0                               ; 0x0
	.size	__hip_cuid_c5f01189283a6342, 1

	.ident	"AMD clang version 22.0.0git (https://github.com/RadeonOpenCompute/llvm-project roc-7.2.4 26084 f58b06dce1f9c15707c5f808fd002e18c2accf7e)"
	.section	".note.GNU-stack","",@progbits
	.addrsig
	.addrsig_sym __hip_cuid_c5f01189283a6342
	.amdgpu_metadata
---
amdhsa.kernels:
  - .args:
      - .actual_access:  read_only
        .address_space:  global
        .offset:         0
        .size:           8
        .value_kind:     global_buffer
      - .offset:         8
        .size:           4
        .value_kind:     by_value
      - .actual_access:  read_only
        .address_space:  global
        .offset:         16
        .size:           8
        .value_kind:     global_buffer
      - .actual_access:  read_only
        .address_space:  global
        .offset:         24
        .size:           8
        .value_kind:     global_buffer
      - .actual_access:  read_only
        .address_space:  global
        .offset:         32
        .size:           8
        .value_kind:     global_buffer
      - .actual_access:  read_only
        .address_space:  global
        .offset:         40
        .size:           8
        .value_kind:     global_buffer
      - .actual_access:  read_only
        .address_space:  global
        .offset:         48
        .size:           8
        .value_kind:     global_buffer
      - .offset:         56
        .size:           1
        .value_kind:     by_value
      - .actual_access:  read_only
        .address_space:  global
        .offset:         64
        .size:           8
        .value_kind:     global_buffer
      - .offset:         72
        .size:           4
        .value_kind:     by_value
      - .actual_access:  write_only
        .address_space:  global
        .offset:         80
        .size:           8
        .value_kind:     global_buffer
      - .actual_access:  write_only
        .address_space:  global
        .offset:         88
        .size:           8
        .value_kind:     global_buffer
      - .actual_access:  write_only
        .address_space:  global
        .offset:         96
        .size:           8
        .value_kind:     global_buffer
      - .offset:         104
        .size:           4
        .value_kind:     by_value
      - .offset:         108
        .size:           4
        .value_kind:     by_value
      - .actual_access:  write_only
        .address_space:  global
        .offset:         112
        .size:           8
        .value_kind:     global_buffer
      - .offset:         120
        .size:           1
        .value_kind:     by_value
      - .address_space:  global
        .offset:         128
        .size:           8
        .value_kind:     global_buffer
      - .offset:         136
        .size:           4
        .value_kind:     hidden_block_count_x
      - .offset:         140
        .size:           4
        .value_kind:     hidden_block_count_y
      - .offset:         144
        .size:           4
        .value_kind:     hidden_block_count_z
      - .offset:         148
        .size:           2
        .value_kind:     hidden_group_size_x
      - .offset:         150
        .size:           2
        .value_kind:     hidden_group_size_y
      - .offset:         152
        .size:           2
        .value_kind:     hidden_group_size_z
      - .offset:         154
        .size:           2
        .value_kind:     hidden_remainder_x
      - .offset:         156
        .size:           2
        .value_kind:     hidden_remainder_y
      - .offset:         158
        .size:           2
        .value_kind:     hidden_remainder_z
      - .offset:         176
        .size:           8
        .value_kind:     hidden_global_offset_x
      - .offset:         184
        .size:           8
        .value_kind:     hidden_global_offset_y
      - .offset:         192
        .size:           8
        .value_kind:     hidden_global_offset_z
      - .offset:         200
        .size:           2
        .value_kind:     hidden_grid_dims
    .group_segment_fixed_size: 0
    .kernarg_segment_align: 8
    .kernarg_segment_size: 392
    .language:       OpenCL C
    .language_version:
      - 2
      - 0
    .max_flat_workgroup_size: 1024
    .name:           _Z6kalmanILi8EEvPKdiS1_S1_S1_S1_S1_bS1_iPdS2_S2_iiS2_bS2_
    .private_segment_fixed_size: 2588
    .sgpr_count:     48
    .sgpr_spill_count: 0
    .symbol:         _Z6kalmanILi8EEvPKdiS1_S1_S1_S1_S1_bS1_iPdS2_S2_iiS2_bS2_.kd
    .uniform_work_group_size: 1
    .uses_dynamic_stack: false
    .vgpr_count:     64
    .vgpr_spill_count: 1674
    .wavefront_size: 64
amdhsa.target:   amdgcn-amd-amdhsa--gfx906
amdhsa.version:
  - 1
  - 2
...

	.end_amdgpu_metadata
